;; amdgpu-corpus repo=ROCm/rocFFT kind=compiled arch=gfx1030 opt=O3
	.text
	.amdgcn_target "amdgcn-amd-amdhsa--gfx1030"
	.amdhsa_code_object_version 6
	.protected	fft_rtc_fwd_len2250_factors_10_3_5_3_5_wgs_90_tpt_90_halfLds_sp_ip_CI_unitstride_sbrr_dirReg ; -- Begin function fft_rtc_fwd_len2250_factors_10_3_5_3_5_wgs_90_tpt_90_halfLds_sp_ip_CI_unitstride_sbrr_dirReg
	.globl	fft_rtc_fwd_len2250_factors_10_3_5_3_5_wgs_90_tpt_90_halfLds_sp_ip_CI_unitstride_sbrr_dirReg
	.p2align	8
	.type	fft_rtc_fwd_len2250_factors_10_3_5_3_5_wgs_90_tpt_90_halfLds_sp_ip_CI_unitstride_sbrr_dirReg,@function
fft_rtc_fwd_len2250_factors_10_3_5_3_5_wgs_90_tpt_90_halfLds_sp_ip_CI_unitstride_sbrr_dirReg: ; @fft_rtc_fwd_len2250_factors_10_3_5_3_5_wgs_90_tpt_90_halfLds_sp_ip_CI_unitstride_sbrr_dirReg
; %bb.0:
	s_clause 0x2
	s_load_dwordx4 s[8:11], s[4:5], 0x0
	s_load_dwordx2 s[2:3], s[4:5], 0x50
	s_load_dwordx2 s[12:13], s[4:5], 0x18
	v_mul_u32_u24_e32 v1, 0x2d9, v0
	v_mov_b32_e32 v3, 0
	v_add_nc_u32_sdwa v5, s6, v1 dst_sel:DWORD dst_unused:UNUSED_PAD src0_sel:DWORD src1_sel:WORD_1
	v_mov_b32_e32 v1, 0
	v_mov_b32_e32 v6, v3
	v_mov_b32_e32 v2, 0
	s_waitcnt lgkmcnt(0)
	v_cmp_lt_u64_e64 s0, s[10:11], 2
	s_and_b32 vcc_lo, exec_lo, s0
	s_cbranch_vccnz .LBB0_8
; %bb.1:
	s_load_dwordx2 s[0:1], s[4:5], 0x10
	v_mov_b32_e32 v1, 0
	s_add_u32 s6, s12, 8
	v_mov_b32_e32 v2, 0
	s_addc_u32 s7, s13, 0
	s_mov_b64 s[16:17], 1
	s_waitcnt lgkmcnt(0)
	s_add_u32 s14, s0, 8
	s_addc_u32 s15, s1, 0
.LBB0_2:                                ; =>This Inner Loop Header: Depth=1
	s_load_dwordx2 s[18:19], s[14:15], 0x0
                                        ; implicit-def: $vgpr7_vgpr8
	s_mov_b32 s0, exec_lo
	s_waitcnt lgkmcnt(0)
	v_or_b32_e32 v4, s19, v6
	v_cmpx_ne_u64_e32 0, v[3:4]
	s_xor_b32 s1, exec_lo, s0
	s_cbranch_execz .LBB0_4
; %bb.3:                                ;   in Loop: Header=BB0_2 Depth=1
	v_cvt_f32_u32_e32 v4, s18
	v_cvt_f32_u32_e32 v7, s19
	s_sub_u32 s0, 0, s18
	s_subb_u32 s20, 0, s19
	v_fmac_f32_e32 v4, 0x4f800000, v7
	v_rcp_f32_e32 v4, v4
	v_mul_f32_e32 v4, 0x5f7ffffc, v4
	v_mul_f32_e32 v7, 0x2f800000, v4
	v_trunc_f32_e32 v7, v7
	v_fmac_f32_e32 v4, 0xcf800000, v7
	v_cvt_u32_f32_e32 v7, v7
	v_cvt_u32_f32_e32 v4, v4
	v_mul_lo_u32 v8, s0, v7
	v_mul_hi_u32 v9, s0, v4
	v_mul_lo_u32 v10, s20, v4
	v_add_nc_u32_e32 v8, v9, v8
	v_mul_lo_u32 v9, s0, v4
	v_add_nc_u32_e32 v8, v8, v10
	v_mul_hi_u32 v10, v4, v9
	v_mul_lo_u32 v11, v4, v8
	v_mul_hi_u32 v12, v4, v8
	v_mul_hi_u32 v13, v7, v9
	v_mul_lo_u32 v9, v7, v9
	v_mul_hi_u32 v14, v7, v8
	v_mul_lo_u32 v8, v7, v8
	v_add_co_u32 v10, vcc_lo, v10, v11
	v_add_co_ci_u32_e32 v11, vcc_lo, 0, v12, vcc_lo
	v_add_co_u32 v9, vcc_lo, v10, v9
	v_add_co_ci_u32_e32 v9, vcc_lo, v11, v13, vcc_lo
	v_add_co_ci_u32_e32 v10, vcc_lo, 0, v14, vcc_lo
	v_add_co_u32 v8, vcc_lo, v9, v8
	v_add_co_ci_u32_e32 v9, vcc_lo, 0, v10, vcc_lo
	v_add_co_u32 v4, vcc_lo, v4, v8
	v_add_co_ci_u32_e32 v7, vcc_lo, v7, v9, vcc_lo
	v_mul_hi_u32 v8, s0, v4
	v_mul_lo_u32 v10, s20, v4
	v_mul_lo_u32 v9, s0, v7
	v_add_nc_u32_e32 v8, v8, v9
	v_mul_lo_u32 v9, s0, v4
	v_add_nc_u32_e32 v8, v8, v10
	v_mul_hi_u32 v10, v4, v9
	v_mul_lo_u32 v11, v4, v8
	v_mul_hi_u32 v12, v4, v8
	v_mul_hi_u32 v13, v7, v9
	v_mul_lo_u32 v9, v7, v9
	v_mul_hi_u32 v14, v7, v8
	v_mul_lo_u32 v8, v7, v8
	v_add_co_u32 v10, vcc_lo, v10, v11
	v_add_co_ci_u32_e32 v11, vcc_lo, 0, v12, vcc_lo
	v_add_co_u32 v9, vcc_lo, v10, v9
	v_add_co_ci_u32_e32 v9, vcc_lo, v11, v13, vcc_lo
	v_add_co_ci_u32_e32 v10, vcc_lo, 0, v14, vcc_lo
	v_add_co_u32 v8, vcc_lo, v9, v8
	v_add_co_ci_u32_e32 v9, vcc_lo, 0, v10, vcc_lo
	v_add_co_u32 v4, vcc_lo, v4, v8
	v_add_co_ci_u32_e32 v11, vcc_lo, v7, v9, vcc_lo
	v_mul_hi_u32 v13, v5, v4
	v_mad_u64_u32 v[9:10], null, v6, v4, 0
	v_mad_u64_u32 v[7:8], null, v5, v11, 0
	;; [unrolled: 1-line block ×3, first 2 shown]
	v_add_co_u32 v4, vcc_lo, v13, v7
	v_add_co_ci_u32_e32 v7, vcc_lo, 0, v8, vcc_lo
	v_add_co_u32 v4, vcc_lo, v4, v9
	v_add_co_ci_u32_e32 v4, vcc_lo, v7, v10, vcc_lo
	v_add_co_ci_u32_e32 v7, vcc_lo, 0, v12, vcc_lo
	v_add_co_u32 v4, vcc_lo, v4, v11
	v_add_co_ci_u32_e32 v9, vcc_lo, 0, v7, vcc_lo
	v_mul_lo_u32 v10, s19, v4
	v_mad_u64_u32 v[7:8], null, s18, v4, 0
	v_mul_lo_u32 v11, s18, v9
	v_sub_co_u32 v7, vcc_lo, v5, v7
	v_add3_u32 v8, v8, v11, v10
	v_sub_nc_u32_e32 v10, v6, v8
	v_subrev_co_ci_u32_e64 v10, s0, s19, v10, vcc_lo
	v_add_co_u32 v11, s0, v4, 2
	v_add_co_ci_u32_e64 v12, s0, 0, v9, s0
	v_sub_co_u32 v13, s0, v7, s18
	v_sub_co_ci_u32_e32 v8, vcc_lo, v6, v8, vcc_lo
	v_subrev_co_ci_u32_e64 v10, s0, 0, v10, s0
	v_cmp_le_u32_e32 vcc_lo, s18, v13
	v_cmp_eq_u32_e64 s0, s19, v8
	v_cndmask_b32_e64 v13, 0, -1, vcc_lo
	v_cmp_le_u32_e32 vcc_lo, s19, v10
	v_cndmask_b32_e64 v14, 0, -1, vcc_lo
	v_cmp_le_u32_e32 vcc_lo, s18, v7
	;; [unrolled: 2-line block ×3, first 2 shown]
	v_cndmask_b32_e64 v15, 0, -1, vcc_lo
	v_cmp_eq_u32_e32 vcc_lo, s19, v10
	v_cndmask_b32_e64 v7, v15, v7, s0
	v_cndmask_b32_e32 v10, v14, v13, vcc_lo
	v_add_co_u32 v13, vcc_lo, v4, 1
	v_add_co_ci_u32_e32 v14, vcc_lo, 0, v9, vcc_lo
	v_cmp_ne_u32_e32 vcc_lo, 0, v10
	v_cndmask_b32_e32 v8, v14, v12, vcc_lo
	v_cndmask_b32_e32 v10, v13, v11, vcc_lo
	v_cmp_ne_u32_e32 vcc_lo, 0, v7
	v_cndmask_b32_e32 v8, v9, v8, vcc_lo
	v_cndmask_b32_e32 v7, v4, v10, vcc_lo
.LBB0_4:                                ;   in Loop: Header=BB0_2 Depth=1
	s_andn2_saveexec_b32 s0, s1
	s_cbranch_execz .LBB0_6
; %bb.5:                                ;   in Loop: Header=BB0_2 Depth=1
	v_cvt_f32_u32_e32 v4, s18
	s_sub_i32 s1, 0, s18
	v_rcp_iflag_f32_e32 v4, v4
	v_mul_f32_e32 v4, 0x4f7ffffe, v4
	v_cvt_u32_f32_e32 v4, v4
	v_mul_lo_u32 v7, s1, v4
	v_mul_hi_u32 v7, v4, v7
	v_add_nc_u32_e32 v4, v4, v7
	v_mul_hi_u32 v4, v5, v4
	v_mul_lo_u32 v7, v4, s18
	v_add_nc_u32_e32 v8, 1, v4
	v_sub_nc_u32_e32 v7, v5, v7
	v_subrev_nc_u32_e32 v9, s18, v7
	v_cmp_le_u32_e32 vcc_lo, s18, v7
	v_cndmask_b32_e32 v7, v7, v9, vcc_lo
	v_cndmask_b32_e32 v4, v4, v8, vcc_lo
	v_cmp_le_u32_e32 vcc_lo, s18, v7
	v_add_nc_u32_e32 v8, 1, v4
	v_cndmask_b32_e32 v7, v4, v8, vcc_lo
	v_mov_b32_e32 v8, v3
.LBB0_6:                                ;   in Loop: Header=BB0_2 Depth=1
	s_or_b32 exec_lo, exec_lo, s0
	s_load_dwordx2 s[0:1], s[6:7], 0x0
	v_mul_lo_u32 v4, v8, s18
	v_mul_lo_u32 v11, v7, s19
	v_mad_u64_u32 v[9:10], null, v7, s18, 0
	s_add_u32 s16, s16, 1
	s_addc_u32 s17, s17, 0
	s_add_u32 s6, s6, 8
	s_addc_u32 s7, s7, 0
	;; [unrolled: 2-line block ×3, first 2 shown]
	v_add3_u32 v4, v10, v11, v4
	v_sub_co_u32 v5, vcc_lo, v5, v9
	v_sub_co_ci_u32_e32 v4, vcc_lo, v6, v4, vcc_lo
	s_waitcnt lgkmcnt(0)
	v_mul_lo_u32 v6, s1, v5
	v_mul_lo_u32 v4, s0, v4
	v_mad_u64_u32 v[1:2], null, s0, v5, v[1:2]
	v_cmp_ge_u64_e64 s0, s[16:17], s[10:11]
	s_and_b32 vcc_lo, exec_lo, s0
	v_add3_u32 v2, v6, v2, v4
	s_cbranch_vccnz .LBB0_9
; %bb.7:                                ;   in Loop: Header=BB0_2 Depth=1
	v_mov_b32_e32 v5, v7
	v_mov_b32_e32 v6, v8
	s_branch .LBB0_2
.LBB0_8:
	v_mov_b32_e32 v8, v6
	v_mov_b32_e32 v7, v5
.LBB0_9:
	s_lshl_b64 s[0:1], s[10:11], 3
	v_mul_hi_u32 v5, 0x2d82d83, v0
	s_add_u32 s0, s12, s0
	s_addc_u32 s1, s13, s1
                                        ; implicit-def: $vgpr21
                                        ; implicit-def: $vgpr15
                                        ; implicit-def: $vgpr19
                                        ; implicit-def: $vgpr13
                                        ; implicit-def: $vgpr25
                                        ; implicit-def: $vgpr11
                                        ; implicit-def: $vgpr23
                                        ; implicit-def: $vgpr9
                                        ; implicit-def: $vgpr29
                                        ; implicit-def: $vgpr45
                                        ; implicit-def: $vgpr31
                                        ; implicit-def: $vgpr41
                                        ; implicit-def: $vgpr37
                                        ; implicit-def: $vgpr43
                                        ; implicit-def: $vgpr35
                                        ; implicit-def: $vgpr39
                                        ; implicit-def: $vgpr27
                                        ; implicit-def: $vgpr17
                                        ; implicit-def: $vgpr57
                                        ; implicit-def: $vgpr55
                                        ; implicit-def: $vgpr59
                                        ; implicit-def: $vgpr53
                                        ; implicit-def: $vgpr63
                                        ; implicit-def: $vgpr49
                                        ; implicit-def: $vgpr61
                                        ; implicit-def: $vgpr47
                                        ; implicit-def: $vgpr51
                                        ; implicit-def: $vgpr33
	s_load_dwordx2 s[0:1], s[0:1], 0x0
	s_load_dwordx2 s[4:5], s[4:5], 0x20
	s_waitcnt lgkmcnt(0)
	v_mul_lo_u32 v3, s0, v8
	v_mul_lo_u32 v4, s1, v7
	v_mad_u64_u32 v[1:2], null, s0, v7, v[1:2]
	v_cmp_gt_u64_e32 vcc_lo, s[4:5], v[7:8]
                                        ; implicit-def: $vgpr7
	v_add3_u32 v2, v4, v2, v3
	v_mul_u32_u24_e32 v3, 0x5a, v5
                                        ; implicit-def: $vgpr5
	v_lshlrev_b64 v[1:2], 3, v[1:2]
	v_sub_nc_u32_e32 v3, v0, v3
	s_and_saveexec_b32 s1, vcc_lo
	s_cbranch_execz .LBB0_13
; %bb.10:
	v_mov_b32_e32 v4, 0
	v_add_co_u32 v0, s0, s2, v1
	v_add_co_ci_u32_e64 v6, s0, s3, v2, s0
	v_lshlrev_b64 v[4:5], 3, v[3:4]
	s_mov_b32 s4, exec_lo
                                        ; implicit-def: $vgpr8
                                        ; implicit-def: $vgpr22
                                        ; implicit-def: $vgpr10
                                        ; implicit-def: $vgpr24
                                        ; implicit-def: $vgpr12
                                        ; implicit-def: $vgpr18
                                        ; implicit-def: $vgpr14
                                        ; implicit-def: $vgpr20
	v_add_co_u32 v64, s0, v0, v4
	v_add_co_ci_u32_e64 v65, s0, v6, v5, s0
                                        ; implicit-def: $vgpr4
                                        ; implicit-def: $vgpr6
	v_add_co_u32 v66, s0, 0x800, v64
	v_add_co_ci_u32_e64 v67, s0, 0, v65, s0
	v_add_co_u32 v68, s0, 0x1800, v64
	v_add_co_ci_u32_e64 v69, s0, 0, v65, s0
	v_add_co_u32 v72, s0, 0x1000, v64
	v_add_co_ci_u32_e64 v73, s0, 0, v65, s0
	v_add_co_u32 v70, s0, 0x2800, v64
	v_add_co_ci_u32_e64 v71, s0, 0, v65, s0
	v_add_co_u32 v76, s0, 0x2000, v64
	v_add_co_ci_u32_e64 v77, s0, 0, v65, s0
	v_add_co_u32 v74, s0, 0x3800, v64
	v_add_co_ci_u32_e64 v75, s0, 0, v65, s0
	v_add_co_u32 v78, s0, 0x3000, v64
	v_add_co_ci_u32_e64 v79, s0, 0, v65, s0
	v_add_co_u32 v80, s0, 0x4000, v64
	s_clause 0xa
	global_load_dwordx2 v[32:33], v[64:65], off
	global_load_dwordx2 v[46:47], v[66:67], off offset:1552
	global_load_dwordx2 v[48:49], v[68:69], off offset:1056
	;; [unrolled: 1-line block ×10, first 2 shown]
	v_add_co_ci_u32_e64 v81, s0, 0, v65, s0
	s_clause 0x8
	global_load_dwordx2 v[36:37], v[76:77], off offset:1528
	global_load_dwordx2 v[62:63], v[76:77], off offset:808
	;; [unrolled: 1-line block ×9, first 2 shown]
	v_cmpx_gt_u32_e32 45, v3
; %bb.11:
	s_clause 0x9
	global_load_dwordx2 v[4:5], v[64:65], off offset:1440
	global_load_dwordx2 v[6:7], v[66:67], off offset:1192
	;; [unrolled: 1-line block ×10, first 2 shown]
; %bb.12:
	s_or_b32 exec_lo, exec_lo, s4
.LBB0_13:
	s_or_b32 exec_lo, exec_lo, s1
	s_waitcnt vmcnt(16)
	v_add_f32_e32 v0, v52, v48
	s_waitcnt vmcnt(15)
	v_add_f32_e32 v65, v54, v46
	v_add_f32_e32 v66, v46, v32
	v_sub_f32_e32 v67, v46, v48
	v_sub_f32_e32 v71, v54, v52
	v_fma_f32 v64, -0.5, v0, v32
	v_fmac_f32_e32 v32, -0.5, v65
	v_sub_f32_e32 v0, v48, v46
	v_sub_f32_e32 v65, v52, v54
	s_waitcnt vmcnt(1)
	v_add_f32_e32 v73, v56, v60
	v_sub_f32_e32 v69, v49, v53
	v_add_f32_e32 v72, v60, v50
	v_add_f32_e32 v71, v71, v67
	v_add_f32_e32 v65, v65, v0
	v_add_f32_e32 v0, v58, v62
	v_sub_f32_e32 v67, v63, v59
	v_sub_f32_e32 v68, v47, v55
	v_fmamk_f32 v70, v69, 0xbf737871, v32
	v_fmac_f32_e32 v32, 0x3f737871, v69
	v_fma_f32 v0, -0.5, v0, v50
	v_fmac_f32_e32 v50, -0.5, v73
	v_sub_f32_e32 v73, v62, v60
	v_sub_f32_e32 v74, v58, v56
	;; [unrolled: 1-line block ×3, first 2 shown]
	v_fmac_f32_e32 v70, 0x3f167918, v68
	v_fmamk_f32 v91, v67, 0xbf737871, v50
	v_fmac_f32_e32 v50, 0x3f737871, v67
	v_fmac_f32_e32 v32, 0xbf167918, v68
	v_sub_f32_e32 v76, v60, v62
	v_add_f32_e32 v73, v74, v73
	v_sub_f32_e32 v74, v56, v58
	v_fmac_f32_e32 v91, 0x3f167918, v75
	v_add_f32_e32 v77, v57, v61
	v_fmac_f32_e32 v50, 0xbf167918, v75
	v_fmac_f32_e32 v70, 0x3e9e377a, v65
	;; [unrolled: 1-line block ×3, first 2 shown]
	v_add_f32_e32 v74, v74, v76
	v_fmac_f32_e32 v91, 0x3e9e377a, v73
	v_fma_f32 v92, -0.5, v77, v51
	v_sub_f32_e32 v76, v62, v58
	v_fmac_f32_e32 v50, 0x3e9e377a, v73
	v_sub_f32_e32 v65, v61, v63
	v_sub_f32_e32 v73, v63, v61
	;; [unrolled: 1-line block ×5, first 2 shown]
	v_add_f32_e32 v79, v59, v63
	v_fmamk_f32 v93, v76, 0x3f737871, v92
	v_fmac_f32_e32 v92, 0xbf737871, v76
	v_add_f32_e32 v73, v77, v73
	v_add_f32_e32 v77, v60, v65
	v_fma_f32 v60, -0.5, v79, v51
	v_fmamk_f32 v95, v75, 0x3f737871, v0
	v_fmac_f32_e32 v93, 0xbf167918, v78
	v_fmac_f32_e32 v92, 0x3f167918, v78
	v_add_f32_e32 v65, v48, v66
	v_fmamk_f32 v94, v78, 0xbf737871, v60
	v_fmac_f32_e32 v95, 0x3f167918, v67
	v_fmac_f32_e32 v0, 0xbf737871, v75
	;; [unrolled: 1-line block ×4, first 2 shown]
	v_fmamk_f32 v73, v68, 0x3f737871, v64
	v_add_f32_e32 v62, v62, v72
	v_add_f32_e32 v65, v52, v65
	v_fmac_f32_e32 v94, 0xbf167918, v76
	v_fmac_f32_e32 v95, 0x3e9e377a, v74
	;; [unrolled: 1-line block ×5, first 2 shown]
	v_add_f32_e32 v58, v58, v62
	v_add_f32_e32 v62, v54, v65
	v_fmac_f32_e32 v94, 0x3e9e377a, v77
	v_mul_f32_e32 v72, 0x3f4f1bbd, v95
	v_mul_f32_e32 v79, 0x3e9e377a, v91
	;; [unrolled: 1-line block ×3, first 2 shown]
	v_fmac_f32_e32 v64, 0xbf737871, v68
	v_fmac_f32_e32 v60, 0x3f167918, v76
	;; [unrolled: 1-line block ×4, first 2 shown]
	v_add_f32_e32 v56, v56, v58
	v_fmac_f32_e32 v72, 0x3f167918, v94
	v_fmac_f32_e32 v79, 0x3f737871, v93
	v_fma_f32 v81, 0x3f737871, v92, -v65
	v_mul_u32_u24_e32 v58, 10, v3
	v_fmac_f32_e32 v64, 0xbf167918, v69
	v_fmac_f32_e32 v60, 0x3e9e377a, v77
	v_mul_f32_e32 v69, 0x3f4f1bbd, v0
	v_add_f32_e32 v65, v56, v62
	v_add_f32_e32 v66, v73, v72
	;; [unrolled: 1-line block ×4, first 2 shown]
	v_lshl_add_u32 v58, v58, 2, 0
	v_fmac_f32_e32 v64, 0x3e9e377a, v71
	v_fma_f32 v69, 0x3f167918, v60, -v69
	s_waitcnt vmcnt(0)
	v_sub_f32_e32 v71, v44, v40
	v_sub_f32_e32 v74, v36, v34
	ds_write2_b64 v58, v[65:66], v[67:68] offset1:1
	v_sub_f32_e32 v65, v73, v72
	v_sub_f32_e32 v66, v70, v79
	;; [unrolled: 1-line block ×3, first 2 shown]
	v_add_f32_e32 v56, v40, v42
	v_add_f32_e32 v67, v64, v69
	;; [unrolled: 1-line block ×3, first 2 shown]
	v_sub_f32_e32 v70, v38, v42
	v_add_f32_e32 v72, v38, v16
	v_fma_f32 v56, -0.5, v56, v16
	ds_write2_b64 v58, v[67:68], v[65:66] offset0:2 offset1:3
	v_fmac_f32_e32 v16, -0.5, v62
	v_sub_f32_e32 v62, v42, v38
	v_sub_f32_e32 v65, v40, v44
	v_add_f32_e32 v66, v71, v70
	v_add_f32_e32 v70, v30, v36
	;; [unrolled: 1-line block ×3, first 2 shown]
	v_sub_f32_e32 v73, v43, v41
	v_add_f32_e32 v65, v65, v62
	v_sub_f32_e32 v75, v30, v28
	v_fma_f32 v62, -0.5, v70, v26
	v_add_f32_e32 v70, v34, v26
	v_fmac_f32_e32 v26, -0.5, v71
	v_sub_f32_e32 v71, v37, v31
	v_sub_f32_e32 v76, v35, v29
	v_fmamk_f32 v67, v73, 0xbf737871, v16
	v_sub_f32_e32 v68, v39, v45
	v_fmac_f32_e32 v16, 0x3f737871, v73
	v_fmamk_f32 v96, v71, 0xbf737871, v26
	v_fmac_f32_e32 v26, 0x3f737871, v71
	v_add_f32_e32 v74, v75, v74
	v_add_f32_e32 v75, v29, v35
	v_fmac_f32_e32 v67, 0x3f167918, v68
	v_fmac_f32_e32 v96, 0x3f167918, v76
	v_fmac_f32_e32 v26, 0xbf167918, v76
	v_fmac_f32_e32 v16, 0xbf167918, v68
	v_sub_f32_e32 v77, v34, v36
	v_sub_f32_e32 v78, v28, v30
	v_fmac_f32_e32 v96, 0x3e9e377a, v74
	v_fma_f32 v98, -0.5, v75, v27
	v_sub_f32_e32 v75, v36, v30
	v_fmac_f32_e32 v26, 0x3e9e377a, v74
	v_sub_f32_e32 v74, v35, v37
	v_sub_f32_e32 v79, v34, v28
	;; [unrolled: 1-line block ×3, first 2 shown]
	v_add_f32_e32 v80, v31, v37
	v_fmac_f32_e32 v67, 0x3e9e377a, v65
	v_fmac_f32_e32 v16, 0x3e9e377a, v65
	v_add_f32_e32 v65, v78, v77
	v_sub_f32_e32 v77, v37, v35
	v_sub_f32_e32 v78, v31, v29
	v_fmamk_f32 v97, v75, 0x3f737871, v98
	v_fmac_f32_e32 v98, 0xbf737871, v75
	v_add_f32_e32 v74, v34, v74
	v_fma_f32 v34, -0.5, v80, v27
	v_fmamk_f32 v100, v76, 0x3f737871, v62
	v_add_f32_e32 v36, v36, v70
	v_fmac_f32_e32 v62, 0xbf737871, v76
	v_add_f32_e32 v77, v78, v77
	v_fmac_f32_e32 v97, 0xbf167918, v79
	v_fmac_f32_e32 v98, 0x3f167918, v79
	v_add_f32_e32 v72, v42, v72
	v_fmamk_f32 v99, v79, 0xbf737871, v34
	v_fmac_f32_e32 v100, 0x3f167918, v71
	v_add_f32_e32 v30, v30, v36
	v_fmac_f32_e32 v34, 0x3f737871, v79
	v_fmac_f32_e32 v62, 0xbf167918, v71
	;; [unrolled: 1-line block ×4, first 2 shown]
	v_fmamk_f32 v77, v68, 0x3f737871, v56
	v_add_f32_e32 v70, v40, v72
	v_fmac_f32_e32 v99, 0xbf167918, v75
	v_fmac_f32_e32 v100, 0x3e9e377a, v65
	v_add_f32_e32 v30, v28, v30
	v_mul_f32_e32 v28, 0x3e9e377a, v26
	v_fmac_f32_e32 v56, 0xbf737871, v68
	v_fmac_f32_e32 v34, 0x3f167918, v75
	;; [unrolled: 1-line block ×4, first 2 shown]
	v_add_f32_e32 v36, v44, v70
	v_fmac_f32_e32 v99, 0x3e9e377a, v74
	v_mul_f32_e32 v70, 0x3f4f1bbd, v100
	v_fma_f32 v65, 0x3f737871, v98, -v28
	v_fmac_f32_e32 v56, 0xbf167918, v73
	v_fmac_f32_e32 v34, 0x3e9e377a, v74
	v_mul_f32_e32 v28, 0x3f4f1bbd, v62
	v_fmac_f32_e32 v77, 0x3e9e377a, v66
	v_mul_f32_e32 v76, 0x3e9e377a, v96
	v_fmac_f32_e32 v70, 0x3f167918, v99
	v_add_f32_e32 v71, v30, v36
	v_fmac_f32_e32 v56, 0x3e9e377a, v66
	v_fma_f32 v66, 0x3f167918, v34, -v28
	v_sub_f32_e32 v78, v36, v30
	v_add_f32_e32 v36, v12, v10
	v_fmac_f32_e32 v76, 0x3f737871, v97
	v_add_f32_e32 v72, v77, v70
	v_add_f32_e32 v74, v16, v65
	v_sub_f32_e32 v75, v77, v70
	v_add_f32_e32 v77, v56, v66
	v_sub_f32_e32 v79, v32, v81
	v_sub_f32_e32 v82, v56, v66
	v_fma_f32 v68, -0.5, v36, v4
	v_sub_f32_e32 v56, v9, v15
	v_sub_f32_e32 v32, v8, v10
	;; [unrolled: 1-line block ×4, first 2 shown]
	v_add_f32_e32 v16, v18, v24
	v_add_f32_e32 v73, v67, v76
	v_sub_f32_e32 v76, v67, v76
	v_sub_f32_e32 v80, v64, v69
	v_fmamk_f32 v67, v56, 0x3f737871, v68
	v_sub_f32_e32 v69, v11, v13
	v_add_f32_e32 v32, v36, v32
	v_fmac_f32_e32 v68, 0xbf737871, v56
	v_fma_f32 v36, -0.5, v16, v6
	v_sub_f32_e32 v64, v23, v21
	v_sub_f32_e32 v16, v22, v24
	;; [unrolled: 1-line block ×3, first 2 shown]
	v_fmac_f32_e32 v67, 0x3f167918, v69
	v_fmac_f32_e32 v68, 0xbf167918, v69
	v_fmamk_f32 v101, v64, 0x3f737871, v36
	v_sub_f32_e32 v66, v25, v19
	v_add_f32_e32 v16, v65, v16
	v_add_f32_e32 v65, v20, v22
	v_fmac_f32_e32 v36, 0xbf737871, v64
	v_fmac_f32_e32 v67, 0x3e9e377a, v32
	;; [unrolled: 1-line block ×4, first 2 shown]
	v_add_f32_e32 v70, v22, v6
	v_fmac_f32_e32 v6, -0.5, v65
	v_fmac_f32_e32 v36, 0xbf167918, v66
	v_sub_f32_e32 v32, v24, v22
	v_sub_f32_e32 v65, v18, v20
	v_add_f32_e32 v83, v19, v25
	v_fmac_f32_e32 v101, 0x3e9e377a, v16
	v_fmac_f32_e32 v36, 0x3e9e377a, v16
	v_fmamk_f32 v16, v66, 0xbf737871, v6
	v_fmac_f32_e32 v6, 0x3f737871, v66
	v_add_f32_e32 v65, v65, v32
	v_fma_f32 v102, -0.5, v83, v7
	v_sub_f32_e32 v66, v22, v20
	v_sub_f32_e32 v22, v23, v25
	;; [unrolled: 1-line block ×3, first 2 shown]
	v_add_f32_e32 v83, v21, v23
	v_fmac_f32_e32 v16, 0x3f167918, v64
	v_sub_f32_e32 v84, v24, v18
	v_fmac_f32_e32 v6, 0xbf167918, v64
	v_add_f32_e32 v64, v32, v22
	v_fma_f32 v32, -0.5, v83, v7
	v_fmamk_f32 v103, v66, 0xbf737871, v102
	v_fmac_f32_e32 v102, 0x3f737871, v66
	v_add_f32_e32 v86, v8, v4
	v_add_f32_e32 v24, v24, v70
	v_fmamk_f32 v22, v84, 0x3f737871, v32
	v_fmac_f32_e32 v32, 0xbf737871, v84
	v_fmac_f32_e32 v103, 0xbf167918, v84
	;; [unrolled: 1-line block ×3, first 2 shown]
	v_sub_f32_e32 v83, v25, v23
	v_fmac_f32_e32 v22, 0xbf167918, v66
	v_fmac_f32_e32 v32, 0x3f167918, v66
	v_add_f32_e32 v66, v10, v86
	v_sub_f32_e32 v85, v19, v21
	v_fmac_f32_e32 v16, 0x3e9e377a, v65
	v_fmac_f32_e32 v6, 0x3e9e377a, v65
	v_fmac_f32_e32 v102, 0x3e9e377a, v64
	v_add_f32_e32 v65, v12, v66
	v_mul_f32_e32 v66, 0x3f4f1bbd, v36
	v_add_f32_e32 v84, v18, v24
	v_fmac_f32_e32 v103, 0x3e9e377a, v64
	v_mul_f32_e32 v24, 0x3f4f1bbd, v101
	v_add_f32_e32 v83, v85, v83
	v_add_f32_e32 v18, v14, v65
	v_fma_f32 v70, 0x3f167918, v102, -v66
	v_add_f32_e32 v20, v20, v84
	v_fmac_f32_e32 v24, 0x3f167918, v103
	v_add_nc_u32_e32 v28, 0xe10, v58
	v_add_nc_u32_e32 v30, 0xe20, v58
	v_fmac_f32_e32 v22, 0x3e9e377a, v83
	v_fmac_f32_e32 v32, 0x3e9e377a, v83
	v_add_f32_e32 v64, v68, v70
	v_sub_f32_e32 v65, v18, v20
	v_cmp_gt_u32_e64 s1, 45, v3
	v_sub_f32_e32 v66, v67, v24
	ds_write2_b64 v28, v[71:72], v[73:74] offset1:1
	ds_write2_b64 v30, v[77:78], v[75:76] offset1:1
	ds_write_b64 v58, v[79:80] offset:32
	ds_write_b64 v58, v[81:82] offset:3632
	s_and_saveexec_b32 s0, s1
	s_cbranch_execz .LBB0_15
; %bb.14:
	v_add_f32_e32 v71, v14, v8
	v_sub_f32_e32 v70, v68, v70
	v_sub_f32_e32 v68, v10, v8
	v_mul_f32_e32 v76, 0x3e9e377a, v16
	v_add_f32_e32 v72, v67, v24
	v_fmac_f32_e32 v4, -0.5, v71
	v_sub_f32_e32 v71, v12, v14
	v_fmac_f32_e32 v76, 0x3f737871, v22
	v_fmamk_f32 v75, v69, 0x3f737871, v4
	v_fmac_f32_e32 v4, 0xbf737871, v69
	v_mul_f32_e32 v69, 0x3e9e377a, v6
	v_add_f32_e32 v68, v71, v68
	v_add_f32_e32 v71, v20, v18
	v_fmac_f32_e32 v75, 0xbf167918, v56
	v_fmac_f32_e32 v4, 0x3f167918, v56
	v_fma_f32 v24, 0x3f737871, v32, -v69
	v_add_nc_u32_e32 v18, 0x1c20, v58
	v_add_nc_u32_e32 v20, 0x1c30, v58
	v_fmac_f32_e32 v75, 0x3e9e377a, v68
	v_fmac_f32_e32 v4, 0x3e9e377a, v68
	v_add_f32_e32 v74, v75, v24
	v_add_f32_e32 v73, v4, v76
	v_sub_f32_e32 v67, v4, v76
	v_sub_f32_e32 v69, v75, v24
	ds_write2_b64 v18, v[71:72], v[73:74] offset1:1
	ds_write2_b64 v20, v[64:65], v[66:67] offset1:1
	ds_write_b64 v58, v[69:70] offset:7232
.LBB0_15:
	s_or_b32 exec_lo, exec_lo, s0
	v_mad_i32_i24 v56, 0xffffffdc, v3, v58
	s_waitcnt lgkmcnt(0)
	s_barrier
	buffer_gl0_inv
	v_cmp_gt_u32_e64 s0, 30, v3
	v_add_nc_u32_e32 v4, 0xa00, v56
	v_add_nc_u32_e32 v18, 0x1600, v56
	;; [unrolled: 1-line block ×5, first 2 shown]
	ds_read2_b32 v[75:76], v4 offset0:110 offset1:200
	v_add_nc_u32_e32 v4, 0x400, v56
	ds_read2_b32 v[67:68], v56 offset1:90
	ds_read2_b32 v[77:78], v18 offset0:92 offset1:182
	ds_read2_b32 v[71:72], v20 offset0:52 offset1:142
	;; [unrolled: 1-line block ×5, first 2 shown]
	v_add_nc_u32_e32 v4, 0x1000, v56
	v_add_nc_u32_e32 v18, 0x1c00, v56
	v_add_nc_u32_e32 v20, 0x800, v56
	v_add_nc_u32_e32 v24, 0x1400, v56
	v_add_nc_u32_e32 v79, 0x1e00, v56
	ds_read2_b32 v[85:86], v4 offset0:86 offset1:176
	ds_read2_b32 v[83:84], v18 offset0:68 offset1:158
	;; [unrolled: 1-line block ×5, first 2 shown]
	s_and_saveexec_b32 s4, s0
	s_cbranch_execz .LBB0_17
; %bb.16:
	ds_read_b32 v64, v56 offset:2880
	ds_read_b32 v65, v56 offset:5880
	;; [unrolled: 1-line block ×3, first 2 shown]
.LBB0_17:
	s_or_b32 exec_lo, exec_lo, s4
	v_add_f32_e32 v18, v53, v49
	v_sub_f32_e32 v20, v46, v54
	v_sub_f32_e32 v24, v47, v49
	;; [unrolled: 1-line block ×3, first 2 shown]
	v_add_f32_e32 v4, v47, v33
	v_fma_f32 v18, -0.5, v18, v33
	v_add_f32_e32 v54, v55, v47
	v_sub_f32_e32 v48, v48, v52
	v_add_f32_e32 v24, v46, v24
	v_add_f32_e32 v46, v61, v51
	;; [unrolled: 1-line block ×3, first 2 shown]
	v_fmamk_f32 v52, v20, 0xbf737871, v18
	v_fmac_f32_e32 v33, -0.5, v54
	v_fmac_f32_e32 v18, 0x3f737871, v20
	v_add_f32_e32 v46, v63, v46
	v_add_f32_e32 v4, v53, v4
	v_fmac_f32_e32 v52, 0xbf167918, v48
	v_fmamk_f32 v54, v48, 0x3f737871, v33
	v_sub_f32_e32 v47, v49, v47
	v_sub_f32_e32 v49, v53, v55
	v_fmac_f32_e32 v18, 0x3f167918, v48
	v_fmac_f32_e32 v33, 0xbf737871, v48
	v_add_f32_e32 v46, v59, v46
	v_add_f32_e32 v4, v55, v4
	v_fmac_f32_e32 v54, 0xbf167918, v20
	v_add_f32_e32 v47, v49, v47
	v_fmac_f32_e32 v52, 0x3e9e377a, v24
	v_fmac_f32_e32 v18, 0x3e9e377a, v24
	;; [unrolled: 1-line block ×3, first 2 shown]
	v_add_f32_e32 v24, v57, v46
	v_add_f32_e32 v57, v39, v17
	v_fmac_f32_e32 v54, 0x3e9e377a, v47
	v_mul_f32_e32 v53, 0xbf737871, v91
	v_fmac_f32_e32 v33, 0x3e9e377a, v47
	v_mul_f32_e32 v47, 0x3e9e377a, v92
	v_add_f32_e32 v46, v24, v4
	v_mul_f32_e32 v49, 0x3f4f1bbd, v60
	v_sub_f32_e32 v51, v4, v24
	v_add_f32_e32 v4, v43, v57
	v_fmac_f32_e32 v53, 0x3e9e377a, v93
	v_fma_f32 v55, 0xbf737871, v50, -v47
	v_add_f32_e32 v50, v41, v43
	v_fma_f32 v0, 0xbf167918, v0, -v49
	v_add_f32_e32 v4, v41, v4
	v_add_f32_e32 v48, v54, v53
	;; [unrolled: 1-line block ×3, first 2 shown]
	v_fma_f32 v59, -0.5, v50, v17
	v_sub_f32_e32 v38, v38, v44
	v_add_f32_e32 v50, v18, v0
	v_sub_f32_e32 v53, v54, v53
	v_add_f32_e32 v44, v45, v39
	v_sub_f32_e32 v54, v33, v55
	v_sub_f32_e32 v55, v18, v0
	v_add_f32_e32 v0, v45, v4
	v_add_f32_e32 v4, v35, v27
	v_sub_f32_e32 v24, v42, v40
	v_fmac_f32_e32 v17, -0.5, v44
	v_sub_f32_e32 v18, v43, v39
	v_sub_f32_e32 v27, v41, v45
	v_add_f32_e32 v4, v37, v4
	v_mul_f32_e32 v20, 0xbf167918, v95
	v_fmamk_f32 v35, v24, 0x3f737871, v17
	v_fmac_f32_e32 v17, 0xbf737871, v24
	v_add_f32_e32 v18, v27, v18
	v_add_f32_e32 v4, v31, v4
	v_sub_f32_e32 v40, v39, v43
	v_fmac_f32_e32 v35, 0xbf167918, v38
	v_fmac_f32_e32 v17, 0x3f167918, v38
	v_sub_f32_e32 v42, v45, v41
	v_add_f32_e32 v29, v29, v4
	v_mul_f32_e32 v4, 0x3e9e377a, v98
	v_fmac_f32_e32 v35, 0x3e9e377a, v18
	v_fmac_f32_e32 v17, 0x3e9e377a, v18
	v_mul_f32_e32 v18, 0x3f4f1bbd, v34
	v_fmac_f32_e32 v20, 0x3f4f1bbd, v94
	v_fma_f32 v41, 0xbf737871, v26, -v4
	v_add_f32_e32 v4, v9, v5
	v_add_f32_e32 v40, v42, v40
	v_fma_f32 v42, 0xbf167918, v62, -v18
	v_add_f32_e32 v18, v13, v11
	v_add_f32_e32 v47, v52, v20
	;; [unrolled: 1-line block ×3, first 2 shown]
	v_sub_f32_e32 v52, v52, v20
	v_fmamk_f32 v20, v38, 0xbf737871, v59
	v_fmac_f32_e32 v59, 0x3f737871, v38
	v_add_f32_e32 v33, v29, v0
	v_fma_f32 v4, -0.5, v18, v5
	v_sub_f32_e32 v18, v8, v14
	v_sub_f32_e32 v38, v0, v29
	v_add_f32_e32 v0, v13, v43
	v_add_f32_e32 v7, v23, v7
	v_fmac_f32_e32 v20, 0xbf167918, v24
	v_fmac_f32_e32 v59, 0x3f167918, v24
	v_mul_f32_e32 v24, 0xbf167918, v100
	v_fmamk_f32 v14, v18, 0xbf737871, v4
	v_sub_f32_e32 v12, v10, v12
	v_sub_f32_e32 v8, v9, v11
	v_sub_f32_e32 v10, v15, v13
	v_fmac_f32_e32 v4, 0x3f737871, v18
	v_add_f32_e32 v23, v15, v0
	v_add_f32_e32 v0, v25, v7
	v_fmac_f32_e32 v20, 0x3e9e377a, v40
	v_fmac_f32_e32 v24, 0x3f4f1bbd, v99
	;; [unrolled: 1-line block ×3, first 2 shown]
	v_add_f32_e32 v7, v10, v8
	v_fmac_f32_e32 v4, 0x3f167918, v12
	v_mul_f32_e32 v8, 0x3f4f1bbd, v102
	v_add_f32_e32 v0, v19, v0
	v_mul_f32_e32 v19, 0xbf167918, v101
	v_mul_f32_e32 v31, 0xbf737871, v96
	v_add_f32_e32 v34, v20, v24
	v_sub_f32_e32 v39, v20, v24
	v_fmac_f32_e32 v14, 0x3e9e377a, v7
	v_fmac_f32_e32 v4, 0x3e9e377a, v7
	v_fma_f32 v20, 0xbf167918, v36, -v8
	v_add_f32_e32 v21, v21, v0
	v_fmac_f32_e32 v19, 0x3f4f1bbd, v103
	v_fmac_f32_e32 v31, 0x3e9e377a, v97
	;; [unrolled: 1-line block ×3, first 2 shown]
	v_add_f32_e32 v7, v4, v20
	v_sub_f32_e32 v8, v23, v21
	v_sub_f32_e32 v10, v14, v19
	v_add_nc_u32_e32 v0, 0xb4, v3
	v_add_f32_e32 v26, v35, v31
	v_add_f32_e32 v27, v17, v41
	v_add_f32_e32 v37, v59, v42
	v_sub_f32_e32 v40, v35, v31
	v_sub_f32_e32 v24, v17, v41
	;; [unrolled: 1-line block ×3, first 2 shown]
	s_waitcnt lgkmcnt(0)
	s_barrier
	buffer_gl0_inv
	ds_write2_b64 v58, v[46:47], v[48:49] offset1:1
	ds_write2_b64 v58, v[50:51], v[52:53] offset0:2 offset1:3
	ds_write_b64 v58, v[54:55] offset:32
	ds_write2_b64 v28, v[33:34], v[26:27] offset1:1
	ds_write2_b64 v30, v[37:38], v[39:40] offset1:1
	ds_write_b64 v58, v[24:25] offset:3632
	s_and_saveexec_b32 s4, s1
	s_cbranch_execz .LBB0_19
; %bb.18:
	v_add_f32_e32 v17, v15, v9
	v_sub_f32_e32 v9, v11, v9
	v_sub_f32_e32 v11, v13, v15
	v_mul_f32_e32 v15, 0x3e9e377a, v32
	v_add_f32_e32 v13, v21, v23
	v_fmac_f32_e32 v5, -0.5, v17
	v_add_f32_e32 v14, v14, v19
	v_add_f32_e32 v9, v11, v9
	v_mul_u32_u24_e32 v11, 10, v0
	v_fmamk_f32 v17, v12, 0x3f737871, v5
	v_fmac_f32_e32 v5, 0xbf737871, v12
	v_mul_f32_e32 v12, 0xbf737871, v16
	v_fmac_f32_e32 v17, 0xbf167918, v18
	v_fmac_f32_e32 v5, 0x3f167918, v18
	;; [unrolled: 1-line block ×3, first 2 shown]
	v_fma_f32 v18, 0xbf737871, v6, -v15
	v_sub_f32_e32 v6, v4, v20
	v_fmac_f32_e32 v17, 0x3e9e377a, v9
	v_fmac_f32_e32 v5, 0x3e9e377a, v9
	v_lshl_add_u32 v4, v11, 2, 0
	v_add_f32_e32 v15, v17, v12
	v_add_f32_e32 v16, v5, v18
	v_sub_f32_e32 v11, v17, v12
	v_sub_f32_e32 v5, v5, v18
	ds_write2_b64 v4, v[13:14], v[15:16] offset1:1
	ds_write2_b64 v4, v[7:8], v[10:11] offset0:2 offset1:3
	ds_write_b64 v4, v[5:6] offset:32
.LBB0_19:
	s_or_b32 exec_lo, exec_lo, s4
	v_add_nc_u32_e32 v6, 0xa00, v56
	s_waitcnt lgkmcnt(0)
	s_barrier
	buffer_gl0_inv
	ds_read2_b32 v[4:5], v56 offset1:90
	ds_read2_b32 v[11:12], v6 offset0:110 offset1:200
	v_add_nc_u32_e32 v6, 0x1600, v56
	v_add_nc_u32_e32 v9, 0x200, v56
	;; [unrolled: 1-line block ×5, first 2 shown]
	ds_read2_b32 v[13:14], v6 offset0:92 offset1:182
	ds_read2_b32 v[17:18], v9 offset0:52 offset1:142
	;; [unrolled: 1-line block ×5, first 2 shown]
	v_add_nc_u32_e32 v6, 0x1000, v56
	v_add_nc_u32_e32 v9, 0x1c00, v56
	;; [unrolled: 1-line block ×5, first 2 shown]
	ds_read2_b32 v[27:28], v6 offset0:86 offset1:176
	ds_read2_b32 v[25:26], v9 offset0:68 offset1:158
	;; [unrolled: 1-line block ×5, first 2 shown]
	s_and_saveexec_b32 s1, s0
	s_cbranch_execz .LBB0_21
; %bb.20:
	ds_read_b32 v7, v56 offset:2880
	ds_read_b32 v8, v56 offset:5880
	ds_read_b32 v10, v56 offset:8880
.LBB0_21:
	s_or_b32 exec_lo, exec_lo, s1
	v_mov_b32_e32 v9, 0xcccd
	v_add_nc_u32_e32 v53, 0x10e, v3
	v_and_b32_e32 v6, 0xff, v3
	v_add_nc_u32_e32 v52, 0x168, v3
	v_add_nc_u32_e32 v58, 0x1c2, v3
	v_mul_u32_u24_sdwa v33, v0, v9 dst_sel:DWORD dst_unused:UNUSED_PAD src0_sel:WORD_0 src1_sel:DWORD
	v_mul_u32_u24_sdwa v34, v53, v9 dst_sel:DWORD dst_unused:UNUSED_PAD src0_sel:WORD_0 src1_sel:DWORD
	v_mov_b32_e32 v37, 4
	v_add_nc_u32_e32 v59, 0x21c, v3
	v_mul_u32_u24_sdwa v36, v52, v9 dst_sel:DWORD dst_unused:UNUSED_PAD src0_sel:WORD_0 src1_sel:DWORD
	v_lshrrev_b32_e32 v38, 19, v33
	v_lshrrev_b32_e32 v39, 19, v34
	v_mul_lo_u16 v33, 0xcd, v6
	v_mul_u32_u24_sdwa v40, v58, v9 dst_sel:DWORD dst_unused:UNUSED_PAD src0_sel:WORD_0 src1_sel:DWORD
	v_add_nc_u32_e32 v57, 0x276, v3
	v_mul_lo_u16 v34, v38, 10
	v_mul_lo_u16 v35, v39, 10
	v_lshrrev_b16 v41, 11, v33
	v_mul_u32_u24_sdwa v42, v59, v9 dst_sel:DWORD dst_unused:UNUSED_PAD src0_sel:WORD_0 src1_sel:DWORD
	v_lshrrev_b32_e32 v45, 19, v36
	v_sub_nc_u16 v43, v0, v34
	v_sub_nc_u16 v44, v53, v35
	v_mul_lo_u16 v33, v41, 10
	v_lshrrev_b32_e32 v40, 19, v40
	v_add_nc_u32_e32 v55, 0x2d0, v3
	v_lshlrev_b32_sdwa v34, v37, v43 dst_sel:DWORD dst_unused:UNUSED_PAD src0_sel:DWORD src1_sel:WORD_0
	v_lshlrev_b32_sdwa v46, v37, v44 dst_sel:DWORD dst_unused:UNUSED_PAD src0_sel:DWORD src1_sel:WORD_0
	v_mul_lo_u16 v47, v45, 10
	v_sub_nc_u16 v50, v3, v33
	v_mul_lo_u16 v48, v40, 10
	s_clause 0x1
	global_load_dwordx4 v[33:36], v34, s[8:9]
	global_load_dwordx4 v[97:100], v46, s[8:9]
	v_mul_u32_u24_sdwa v46, v57, v9 dst_sel:DWORD dst_unused:UNUSED_PAD src0_sel:WORD_0 src1_sel:DWORD
	v_lshrrev_b32_e32 v51, 19, v42
	v_sub_nc_u16 v47, v52, v47
	v_mul_u32_u24_sdwa v9, v55, v9 dst_sel:DWORD dst_unused:UNUSED_PAD src0_sel:WORD_0 src1_sel:DWORD
	v_sub_nc_u16 v60, v58, v48
	v_lshrrev_b32_e32 v46, 19, v46
	v_mul_lo_u16 v48, v51, 10
	v_lshlrev_b32_sdwa v49, v37, v50 dst_sel:DWORD dst_unused:UNUSED_PAD src0_sel:DWORD src1_sel:BYTE_0
	v_lshlrev_b32_sdwa v42, v37, v47 dst_sel:DWORD dst_unused:UNUSED_PAD src0_sel:DWORD src1_sel:WORD_0
	v_lshrrev_b32_e32 v61, 19, v9
	v_mul_lo_u16 v9, v46, 10
	v_sub_nc_u16 v62, v59, v48
	v_add_nc_u32_e32 v54, 0x5a, v3
	s_clause 0x1
	global_load_dwordx4 v[101:104], v49, s[8:9]
	global_load_dwordx4 v[105:108], v42, s[8:9]
	v_lshlrev_b32_sdwa v49, v37, v60 dst_sel:DWORD dst_unused:UNUSED_PAD src0_sel:DWORD src1_sel:WORD_0
	v_lshlrev_b32_sdwa v42, v37, v62 dst_sel:DWORD dst_unused:UNUSED_PAD src0_sel:DWORD src1_sel:WORD_0
	v_sub_nc_u16 v63, v57, v9
	v_mul_lo_u16 v48, v61, 10
	v_and_b32_e32 v9, 0xff, v54
	s_clause 0x1
	global_load_dwordx4 v[109:112], v49, s[8:9]
	global_load_dwordx4 v[113:116], v42, s[8:9]
	v_lshlrev_b32_sdwa v42, v37, v63 dst_sel:DWORD dst_unused:UNUSED_PAD src0_sel:DWORD src1_sel:WORD_0
	v_sub_nc_u16 v48, v55, v48
	v_mul_lo_u16 v49, 0xcd, v9
	v_mul_u32_u24_e32 v38, 0x78, v38
	v_mul_u32_u24_e32 v45, 0x78, v45
	global_load_dwordx4 v[117:120], v42, s[8:9]
	v_lshlrev_b32_sdwa v42, v37, v48 dst_sel:DWORD dst_unused:UNUSED_PAD src0_sel:DWORD src1_sel:WORD_0
	v_lshrrev_b16 v91, 11, v49
	v_mul_u32_u24_e32 v40, 0x78, v40
	v_mul_u32_u24_e32 v129, 0x78, v51
	;; [unrolled: 1-line block ×3, first 2 shown]
	global_load_dwordx4 v[121:124], v42, s[8:9]
	v_mul_lo_u16 v42, v91, 10
	v_mul_u32_u24_e32 v46, 0x78, v46
	v_mul_lo_u16 v49, v61, 30
	v_sub_nc_u16 v96, v54, v42
	v_mov_b32_e32 v42, 2
	v_lshlrev_b32_sdwa v37, v37, v96 dst_sel:DWORD dst_unused:UNUSED_PAD src0_sel:DWORD src1_sel:BYTE_0
	v_lshlrev_b32_sdwa v43, v42, v43 dst_sel:DWORD dst_unused:UNUSED_PAD src0_sel:DWORD src1_sel:WORD_0
	v_lshlrev_b32_sdwa v47, v42, v47 dst_sel:DWORD dst_unused:UNUSED_PAD src0_sel:DWORD src1_sel:WORD_0
	v_lshlrev_b32_sdwa v51, v42, v60 dst_sel:DWORD dst_unused:UNUSED_PAD src0_sel:DWORD src1_sel:WORD_0
	v_lshlrev_b32_sdwa v50, v42, v50 dst_sel:DWORD dst_unused:UNUSED_PAD src0_sel:DWORD src1_sel:BYTE_0
	global_load_dwordx4 v[125:128], v37, s[8:9]
	v_mov_b32_e32 v37, 0x78
	v_add3_u32 v94, 0, v38, v43
	v_lshlrev_b32_sdwa v38, v42, v96 dst_sel:DWORD dst_unused:UNUSED_PAD src0_sel:DWORD src1_sel:BYTE_0
	v_lshlrev_b32_sdwa v44, v42, v44 dst_sel:DWORD dst_unused:UNUSED_PAD src0_sel:DWORD src1_sel:WORD_0
	v_lshlrev_b32_sdwa v60, v42, v62 dst_sel:DWORD dst_unused:UNUSED_PAD src0_sel:DWORD src1_sel:WORD_0
	v_mul_u32_u24_sdwa v41, v41, v37 dst_sel:DWORD dst_unused:UNUSED_PAD src0_sel:WORD_0 src1_sel:DWORD
	v_mul_u32_u24_sdwa v37, v91, v37 dst_sel:DWORD dst_unused:UNUSED_PAD src0_sel:WORD_0 src1_sel:DWORD
	v_lshlrev_b32_sdwa v61, v42, v63 dst_sel:DWORD dst_unused:UNUSED_PAD src0_sel:DWORD src1_sel:WORD_0
	v_add3_u32 v92, 0, v45, v47
	v_add3_u32 v51, 0, v40, v51
	;; [unrolled: 1-line block ×7, first 2 shown]
	s_waitcnt vmcnt(0) lgkmcnt(0)
	s_barrier
	buffer_gl0_inv
	v_mul_f32_e32 v43, v31, v34
	v_mul_f32_e32 v40, v90, v98
	;; [unrolled: 1-line block ×8, first 2 shown]
	v_fmac_f32_e32 v40, v32, v97
	v_fma_f32 v47, v88, v99, -v47
	v_fmac_f32_e32 v37, v30, v99
	v_fma_f32 v43, v89, v33, -v43
	;; [unrolled: 2-line block ×3, first 2 shown]
	v_fma_f32 v46, v90, v97, -v45
	v_mul_f32_e32 v60, v11, v102
	v_mul_f32_e32 v61, v13, v104
	;; [unrolled: 1-line block ×6, first 2 shown]
	v_fma_f32 v77, v77, v103, -v61
	v_mul_f32_e32 v33, v84, v112
	v_mul_f32_e32 v32, v79, v116
	v_fma_f32 v45, v83, v107, -v100
	v_fma_f32 v83, v75, v101, -v60
	v_mul_f32_e32 v98, v27, v106
	v_mul_f32_e32 v38, v85, v106
	;; [unrolled: 1-line block ×3, first 2 shown]
	v_fmac_f32_e32 v39, v29, v35
	v_mul_f32_e32 v36, v86, v110
	v_mul_f32_e32 v89, v26, v112
	;; [unrolled: 1-line block ×12, first 2 shown]
	v_fmac_f32_e32 v32, v21, v115
	v_fma_f32 v21, v65, v121, -v99
	v_fmac_f32_e32 v88, v8, v121
	v_fma_f32 v8, v66, v123, -v108
	v_fmac_f32_e32 v33, v26, v111
	v_fmac_f32_e32 v87, v10, v123
	v_mul_f32_e32 v31, v82, v118
	v_fma_f32 v30, v85, v105, -v98
	v_fmac_f32_e32 v38, v27, v105
	v_mul_f32_e32 v60, v12, v126
	v_mul_f32_e32 v75, v76, v126
	;; [unrolled: 1-line block ×4, first 2 shown]
	v_fmac_f32_e32 v34, v25, v107
	v_fma_f32 v10, v76, v125, -v60
	v_fmac_f32_e32 v75, v12, v125
	v_fma_f32 v12, v78, v127, -v61
	v_fma_f32 v27, v86, v109, -v102
	v_fmac_f32_e32 v36, v28, v109
	v_fma_f32 v28, v84, v111, -v89
	v_fmac_f32_e32 v63, v11, v101
	v_fmac_f32_e32 v62, v13, v103
	v_fma_f32 v25, v81, v113, -v104
	v_fmac_f32_e32 v35, v23, v113
	v_fma_f32 v23, v79, v115, -v90
	v_fma_f32 v11, v82, v117, -v97
	;; [unrolled: 1-line block ×3, first 2 shown]
	v_fmac_f32_e32 v29, v22, v119
	v_add_f32_e32 v22, v83, v77
	v_add_f32_e32 v60, v71, v43
	;; [unrolled: 1-line block ×3, first 2 shown]
	v_fmac_f32_e32 v26, v14, v127
	v_add_f32_e32 v102, v10, v12
	v_add_f32_e32 v61, v43, v44
	v_fmac_f32_e32 v31, v24, v117
	v_add_f32_e32 v14, v67, v83
	v_sub_f32_e32 v24, v63, v62
	v_add_f32_e32 v76, v46, v47
	v_add_f32_e32 v80, v30, v45
	;; [unrolled: 1-line block ×5, first 2 shown]
	v_sub_f32_e32 v101, v88, v87
	v_fma_f32 v22, -0.5, v22, v67
	v_add_f32_e32 v104, v60, v44
	v_fma_f32 v60, -0.5, v100, v64
	v_add_f32_e32 v67, v68, v10
	v_sub_f32_e32 v103, v75, v26
	v_fmac_f32_e32 v68, -0.5, v102
	v_sub_f32_e32 v65, v41, v39
	v_fma_f32 v71, -0.5, v61, v71
	v_add_f32_e32 v66, v72, v46
	v_sub_f32_e32 v78, v40, v37
	v_add_f32_e32 v79, v69, v30
	v_sub_f32_e32 v81, v38, v34
	v_add_f32_e32 v82, v70, v27
	v_sub_f32_e32 v85, v36, v33
	v_add_f32_e32 v86, v73, v25
	v_sub_f32_e32 v90, v35, v32
	v_add_f32_e32 v97, v74, v11
	v_sub_f32_e32 v99, v31, v29
	v_add_f32_e32 v14, v14, v77
	v_fmac_f32_e32 v72, -0.5, v76
	v_fma_f32 v69, -0.5, v80, v69
	v_fmac_f32_e32 v70, -0.5, v84
	v_fma_f32 v73, -0.5, v89, v73
	v_fmac_f32_e32 v74, -0.5, v98
	v_fmamk_f32 v84, v24, 0x3f5db3d7, v22
	v_fmamk_f32 v61, v101, 0x3f5db3d7, v60
	v_fmac_f32_e32 v60, 0xbf5db3d7, v101
	v_fmac_f32_e32 v22, 0xbf5db3d7, v24
	v_add_f32_e32 v24, v67, v12
	v_fmamk_f32 v89, v103, 0x3f5db3d7, v68
	v_fmac_f32_e32 v68, 0xbf5db3d7, v103
	v_fmamk_f32 v67, v65, 0x3f5db3d7, v71
	v_add_f32_e32 v66, v66, v47
	v_add_f32_e32 v76, v79, v45
	;; [unrolled: 1-line block ×5, first 2 shown]
	v_fmac_f32_e32 v71, 0xbf5db3d7, v65
	v_fmamk_f32 v65, v78, 0x3f5db3d7, v72
	v_fmac_f32_e32 v72, 0xbf5db3d7, v78
	v_fmamk_f32 v78, v81, 0x3f5db3d7, v69
	v_fmac_f32_e32 v69, 0xbf5db3d7, v81
	v_fmamk_f32 v81, v85, 0x3f5db3d7, v70
	v_fmac_f32_e32 v70, 0xbf5db3d7, v85
	v_fmamk_f32 v85, v90, 0x3f5db3d7, v73
	v_fmac_f32_e32 v73, 0xbf5db3d7, v90
	v_fmamk_f32 v86, v99, 0x3f5db3d7, v74
	v_fmac_f32_e32 v74, 0xbf5db3d7, v99
	ds_write2_b32 v95, v14, v84 offset1:10
	ds_write_b32 v95, v22 offset:80
	ds_write2_b32 v96, v24, v89 offset1:10
	ds_write_b32 v96, v68 offset:80
	;; [unrolled: 2-line block ×8, first 2 shown]
	s_and_saveexec_b32 s1, s0
	s_cbranch_execz .LBB0_23
; %bb.22:
	v_add_f32_e32 v14, v64, v21
	v_lshlrev_b32_sdwa v22, v42, v48 dst_sel:DWORD dst_unused:UNUSED_PAD src0_sel:DWORD src1_sel:WORD_0
	v_lshlrev_b32_sdwa v24, v42, v49 dst_sel:DWORD dst_unused:UNUSED_PAD src0_sel:DWORD src1_sel:WORD_0
	v_add_f32_e32 v14, v14, v8
	v_add3_u32 v22, 0, v22, v24
	ds_write2_b32 v22, v14, v61 offset1:10
	ds_write_b32 v22, v60 offset:80
.LBB0_23:
	s_or_b32 exec_lo, exec_lo, s1
	v_add_f32_e32 v14, v63, v62
	v_add_f32_e32 v42, v75, v26
	v_sub_f32_e32 v10, v10, v12
	v_add_f32_e32 v12, v41, v39
	v_add_f32_e32 v22, v4, v63
	v_fma_f32 v4, -0.5, v14, v4
	v_add_f32_e32 v14, v5, v75
	v_fmac_f32_e32 v5, -0.5, v42
	v_fma_f32 v68, -0.5, v12, v17
	v_sub_f32_e32 v12, v43, v44
	v_sub_f32_e32 v24, v83, v77
	v_add_f32_e32 v66, v14, v26
	v_fmamk_f32 v67, v10, 0xbf5db3d7, v5
	v_add_f32_e32 v14, v17, v41
	v_fmac_f32_e32 v5, 0x3f5db3d7, v10
	v_add_f32_e32 v10, v40, v37
	v_fmamk_f32 v70, v12, 0xbf5db3d7, v68
	v_fmac_f32_e32 v68, 0x3f5db3d7, v12
	v_add_f32_e32 v12, v38, v34
	v_add_f32_e32 v69, v14, v39
	;; [unrolled: 1-line block ×3, first 2 shown]
	v_fmac_f32_e32 v18, -0.5, v10
	v_sub_f32_e32 v10, v46, v47
	v_fma_f32 v73, -0.5, v12, v15
	v_sub_f32_e32 v12, v30, v45
	v_add_f32_e32 v71, v14, v37
	v_add_f32_e32 v14, v15, v38
	v_fmamk_f32 v72, v10, 0xbf5db3d7, v18
	v_fmac_f32_e32 v18, 0x3f5db3d7, v10
	v_add_f32_e32 v10, v36, v33
	v_fmamk_f32 v75, v12, 0xbf5db3d7, v73
	v_fmac_f32_e32 v73, 0x3f5db3d7, v12
	v_add_f32_e32 v12, v19, v35
	v_add_f32_e32 v74, v14, v34
	;; [unrolled: 1-line block ×3, first 2 shown]
	v_fmac_f32_e32 v16, -0.5, v10
	v_sub_f32_e32 v10, v27, v28
	v_add_f32_e32 v79, v12, v32
	v_add_f32_e32 v12, v88, v87
	;; [unrolled: 1-line block ×4, first 2 shown]
	v_fmamk_f32 v77, v10, 0xbf5db3d7, v16
	v_fmac_f32_e32 v16, 0x3f5db3d7, v10
	v_add_f32_e32 v10, v31, v29
	v_fma_f32 v62, -0.5, v12, v7
	v_sub_f32_e32 v8, v21, v8
	v_add_f32_e32 v76, v14, v33
	v_fma_f32 v78, -0.5, v15, v19
	v_sub_f32_e32 v14, v25, v23
	v_add_f32_e32 v15, v20, v31
	v_fmac_f32_e32 v20, -0.5, v10
	v_sub_f32_e32 v10, v11, v13
	v_add_nc_u32_e32 v39, 0xc00, v56
	v_add_nc_u32_e32 v45, 0x200, v56
	v_fmamk_f32 v63, v8, 0xbf5db3d7, v62
	v_fmac_f32_e32 v62, 0x3f5db3d7, v8
	v_add_nc_u32_e32 v19, 0x400, v56
	v_add_nc_u32_e32 v8, 0x1200, v56
	;; [unrolled: 1-line block ×9, first 2 shown]
	v_fmamk_f32 v65, v24, 0xbf5db3d7, v4
	v_fmac_f32_e32 v4, 0x3f5db3d7, v24
	v_fmamk_f32 v80, v14, 0xbf5db3d7, v78
	v_fmac_f32_e32 v78, 0x3f5db3d7, v14
	v_add_f32_e32 v81, v15, v29
	v_fmamk_f32 v82, v10, 0xbf5db3d7, v20
	v_fmac_f32_e32 v20, 0x3f5db3d7, v10
	s_waitcnt lgkmcnt(0)
	s_barrier
	buffer_gl0_inv
	ds_read2_b32 v[12:13], v56 offset1:90
	ds_read2_b32 v[10:11], v19 offset0:104 offset1:194
	ds_read2_b32 v[37:38], v39 offset0:132 offset1:222
	;; [unrolled: 1-line block ×11, first 2 shown]
	ds_read_b32 v17, v56 offset:8640
	s_waitcnt lgkmcnt(0)
	s_barrier
	buffer_gl0_inv
	ds_write2_b32 v95, v64, v65 offset1:10
	ds_write_b32 v95, v4 offset:80
	ds_write2_b32 v96, v66, v67 offset1:10
	ds_write_b32 v96, v5 offset:80
	;; [unrolled: 2-line block ×8, first 2 shown]
	s_and_saveexec_b32 s1, s0
	s_cbranch_execz .LBB0_25
; %bb.24:
	v_mov_b32_e32 v4, 2
	v_add_f32_e32 v5, v7, v88
	v_lshlrev_b32_sdwa v7, v4, v48 dst_sel:DWORD dst_unused:UNUSED_PAD src0_sel:DWORD src1_sel:WORD_0
	v_lshlrev_b32_sdwa v4, v4, v49 dst_sel:DWORD dst_unused:UNUSED_PAD src0_sel:DWORD src1_sel:WORD_0
	v_add_f32_e32 v5, v5, v87
	v_add3_u32 v4, 0, v7, v4
	ds_write2_b32 v4, v5, v63 offset1:10
	ds_write_b32 v4, v62 offset:80
.LBB0_25:
	s_or_b32 exec_lo, exec_lo, s1
	v_mul_lo_u16 v4, 0x89, v6
	s_waitcnt lgkmcnt(0)
	s_barrier
	buffer_gl0_inv
	v_mov_b32_e32 v82, 0x258
	v_lshrrev_b16 v16, 12, v4
	v_mul_lo_u16 v4, 0x89, v9
	v_mov_b32_e32 v83, 2
	v_add_nc_u32_e32 v48, 0x1600, v56
	v_mul_lo_u16 v5, v16, 30
	v_lshrrev_b16 v18, 12, v4
	v_mov_b32_e32 v4, 5
	v_mul_u32_u24_sdwa v16, v16, v82 dst_sel:DWORD dst_unused:UNUSED_PAD src0_sel:WORD_0 src1_sel:DWORD
	v_sub_nc_u16 v20, v3, v5
	v_mul_lo_u16 v5, v18, 30
	v_mul_u32_u24_sdwa v18, v18, v82 dst_sel:DWORD dst_unused:UNUSED_PAD src0_sel:WORD_0 src1_sel:DWORD
	v_lshlrev_b32_sdwa v6, v4, v20 dst_sel:DWORD dst_unused:UNUSED_PAD src0_sel:DWORD src1_sel:BYTE_0
	v_sub_nc_u16 v49, v54, v5
	v_mov_b32_e32 v5, 0x8889
	v_lshlrev_b32_sdwa v20, v83, v20 dst_sel:DWORD dst_unused:UNUSED_PAD src0_sel:DWORD src1_sel:BYTE_0
	s_clause 0x1
	global_load_dwordx4 v[69:72], v6, s[8:9] offset:160
	global_load_dwordx4 v[73:76], v6, s[8:9] offset:176
	v_mul_u32_u24_sdwa v6, v0, v5 dst_sel:DWORD dst_unused:UNUSED_PAD src0_sel:WORD_0 src1_sel:DWORD
	v_lshlrev_b32_sdwa v7, v4, v49 dst_sel:DWORD dst_unused:UNUSED_PAD src0_sel:DWORD src1_sel:BYTE_0
	v_lshlrev_b32_sdwa v49, v83, v49 dst_sel:DWORD dst_unused:UNUSED_PAD src0_sel:DWORD src1_sel:BYTE_0
	v_lshrrev_b32_e32 v50, 20, v6
	v_mul_u32_u24_sdwa v6, v53, v5 dst_sel:DWORD dst_unused:UNUSED_PAD src0_sel:WORD_0 src1_sel:DWORD
	v_mul_u32_u24_sdwa v5, v52, v5 dst_sel:DWORD dst_unused:UNUSED_PAD src0_sel:WORD_0 src1_sel:DWORD
	s_clause 0x1
	global_load_dwordx4 v[77:80], v7, s[8:9] offset:160
	global_load_dwordx4 v[102:105], v7, s[8:9] offset:176
	v_lshrrev_b32_e32 v51, 20, v6
	v_lshrrev_b32_e32 v67, 20, v5
	v_mul_lo_u16 v6, v51, 30
	v_mul_lo_u16 v5, v67, 30
	v_mul_u32_u24_e32 v82, 0x258, v51
	v_mul_u32_u24_e32 v84, 0x258, v67
	v_add3_u32 v51, 0, v18, v49
	v_sub_nc_u16 v68, v53, v6
	v_sub_nc_u16 v81, v52, v5
	v_lshlrev_b32_sdwa v6, v4, v68 dst_sel:DWORD dst_unused:UNUSED_PAD src0_sel:DWORD src1_sel:WORD_0
	v_lshlrev_b32_sdwa v87, v83, v68 dst_sel:DWORD dst_unused:UNUSED_PAD src0_sel:DWORD src1_sel:WORD_0
	v_add3_u32 v68, 0, v16, v20
	global_load_dwordx4 v[114:117], v6, s[8:9] offset:160
	v_mul_lo_u16 v7, v50, 30
	v_mul_u32_u24_e32 v50, 0x258, v50
	v_sub_nc_u16 v66, v0, v7
	v_lshlrev_b32_sdwa v7, v4, v66 dst_sel:DWORD dst_unused:UNUSED_PAD src0_sel:DWORD src1_sel:WORD_0
	v_lshlrev_b32_sdwa v4, v4, v81 dst_sel:DWORD dst_unused:UNUSED_PAD src0_sel:DWORD src1_sel:WORD_0
	;; [unrolled: 1-line block ×4, first 2 shown]
	s_clause 0x4
	global_load_dwordx4 v[106:109], v7, s[8:9] offset:160
	global_load_dwordx4 v[110:113], v7, s[8:9] offset:176
	;; [unrolled: 1-line block ×5, first 2 shown]
	ds_read2_b32 v[4:5], v19 offset0:104 offset1:194
	ds_read2_b32 v[64:65], v39 offset0:132 offset1:222
	;; [unrolled: 1-line block ×4, first 2 shown]
	ds_read2_b32 v[8:9], v56 offset1:90
	ds_read2_b32 v[91:92], v41 offset0:28 offset1:118
	ds_read2_b32 v[132:133], v42 offset0:160 offset1:250
	;; [unrolled: 1-line block ×7, first 2 shown]
	ds_read_b32 v142, v56 offset:8640
	v_add3_u32 v67, 0, v50, v66
	v_add3_u32 v50, 0, v82, v87
	;; [unrolled: 1-line block ×3, first 2 shown]
	s_waitcnt vmcnt(0) lgkmcnt(0)
	s_barrier
	buffer_gl0_inv
	v_mul_f32_e32 v16, v5, v70
	v_mul_f32_e32 v95, v11, v70
	;; [unrolled: 1-line block ×5, first 2 shown]
	v_fma_f32 v98, v11, v69, -v16
	v_mul_f32_e32 v93, v22, v74
	v_mul_f32_e32 v66, v85, v76
	;; [unrolled: 1-line block ×3, first 2 shown]
	v_fmac_f32_e32 v95, v5, v69
	v_mul_f32_e32 v70, v65, v80
	v_mul_f32_e32 v11, v86, v105
	;; [unrolled: 1-line block ×6, first 2 shown]
	v_fma_f32 v97, v36, v104, -v11
	v_fma_f32 v99, v37, v71, -v18
	v_fmac_f32_e32 v96, v64, v71
	v_mul_f32_e32 v84, v25, v103
	v_fma_f32 v100, v22, v73, -v20
	v_fmac_f32_e32 v93, v131, v73
	v_fma_f32 v101, v35, v75, -v66
	v_fmac_f32_e32 v88, v85, v75
	v_mul_f32_e32 v85, v36, v105
	v_fma_f32 v90, v38, v79, -v70
	v_fmac_f32_e32 v81, v65, v79
	v_fma_f32 v94, v33, v77, -v72
	v_fmac_f32_e32 v82, v91, v77
	;; [unrolled: 2-line block ×3, first 2 shown]
	v_fmac_f32_e32 v85, v86, v104
	v_mul_f32_e32 v22, v138, v115
	v_mul_f32_e32 v25, v135, v117
	;; [unrolled: 1-line block ×4, first 2 shown]
	v_fma_f32 v80, v27, v114, -v22
	v_fma_f32 v78, v32, v116, -v25
	v_add_f32_e32 v22, v98, v101
	v_add_f32_e32 v25, v13, v94
	v_sub_f32_e32 v32, v90, v94
	v_fmac_f32_e32 v37, v138, v114
	v_fmac_f32_e32 v38, v135, v116
	v_sub_f32_e32 v27, v82, v85
	v_add_f32_e32 v103, v15, v80
	v_mul_f32_e32 v11, v92, v107
	v_mul_f32_e32 v74, v34, v107
	;; [unrolled: 1-line block ×9, first 2 shown]
	v_fma_f32 v89, v34, v106, -v11
	v_mul_f32_e32 v11, v141, v127
	v_mul_f32_e32 v73, v142, v129
	;; [unrolled: 1-line block ×8, first 2 shown]
	v_fmac_f32_e32 v74, v92, v106
	v_mul_f32_e32 v36, v24, v127
	v_fma_f32 v86, v31, v108, -v16
	v_fma_f32 v87, v26, v110, -v18
	;; [unrolled: 1-line block ×9, first 2 shown]
	v_add_f32_e32 v16, v99, v100
	v_sub_f32_e32 v20, v98, v99
	v_sub_f32_e32 v21, v101, v100
	;; [unrolled: 1-line block ×4, first 2 shown]
	v_add_f32_e32 v26, v90, v91
	v_sub_f32_e32 v29, v94, v90
	v_sub_f32_e32 v30, v97, v91
	v_add_f32_e32 v31, v94, v97
	v_sub_f32_e32 v33, v91, v97
	v_mul_f32_e32 v5, v28, v123
	v_mul_f32_e32 v34, v17, v129
	v_fmac_f32_e32 v75, v134, v108
	v_fmac_f32_e32 v76, v133, v110
	;; [unrolled: 1-line block ×7, first 2 shown]
	v_add_f32_e32 v11, v12, v98
	v_sub_f32_e32 v17, v95, v88
	v_sub_f32_e32 v18, v96, v93
	v_sub_f32_e32 v28, v81, v84
	v_fma_f32 v16, -0.5, v16, v12
	v_add_f32_e32 v20, v20, v21
	v_fma_f32 v12, -0.5, v22, v12
	v_add_f32_e32 v21, v23, v24
	v_add_f32_e32 v22, v25, v90
	v_fma_f32 v23, -0.5, v26, v13
	v_add_f32_e32 v24, v29, v30
	v_fmac_f32_e32 v13, -0.5, v31
	v_add_f32_e32 v25, v32, v33
	v_add_f32_e32 v26, v14, v89
	;; [unrolled: 1-line block ×3, first 2 shown]
	v_sub_f32_e32 v32, v89, v86
	v_sub_f32_e32 v33, v92, v87
	v_add_f32_e32 v64, v89, v92
	v_sub_f32_e32 v65, v86, v89
	v_sub_f32_e32 v102, v87, v92
	v_add_f32_e32 v104, v78, v79
	v_add_f32_e32 v109, v80, v83
	;; [unrolled: 1-line block ×4, first 2 shown]
	v_fmac_f32_e32 v5, v139, v122
	v_fmac_f32_e32 v34, v142, v128
	v_sub_f32_e32 v30, v74, v77
	v_sub_f32_e32 v31, v75, v76
	;; [unrolled: 1-line block ×6, first 2 shown]
	v_add_f32_e32 v112, v10, v72
	v_sub_f32_e32 v115, v35, v36
	v_fmamk_f32 v121, v17, 0x3f737871, v16
	v_fmac_f32_e32 v16, 0xbf737871, v17
	v_fmamk_f32 v122, v18, 0xbf737871, v12
	v_fmac_f32_e32 v12, 0x3f737871, v18
	v_add_f32_e32 v22, v22, v91
	v_add_f32_e32 v32, v32, v33
	v_fmamk_f32 v33, v27, 0x3f737871, v23
	v_fmac_f32_e32 v23, 0xbf737871, v27
	v_add_f32_e32 v102, v65, v102
	v_fmamk_f32 v123, v28, 0xbf737871, v13
	v_fmac_f32_e32 v13, 0x3f737871, v28
	v_add_f32_e32 v26, v26, v86
	v_fma_f32 v29, -0.5, v29, v14
	v_fma_f32 v14, -0.5, v64, v14
	v_add_f32_e32 v64, v103, v78
	v_fma_f32 v103, -0.5, v104, v15
	v_fmac_f32_e32 v15, -0.5, v109
	v_fma_f32 v65, -0.5, v113, v10
	v_fmac_f32_e32 v10, -0.5, v118
	v_add_f32_e32 v11, v11, v99
	v_sub_f32_e32 v110, v78, v80
	v_sub_f32_e32 v111, v79, v83
	;; [unrolled: 1-line block ×5, first 2 shown]
	v_add_f32_e32 v104, v107, v108
	v_add_f32_e32 v108, v112, v70
	v_fmac_f32_e32 v121, 0x3f167918, v18
	v_fmac_f32_e32 v16, 0xbf167918, v18
	;; [unrolled: 1-line block ×4, first 2 shown]
	v_add_f32_e32 v17, v22, v97
	v_fmac_f32_e32 v33, 0x3f167918, v28
	v_fmac_f32_e32 v23, 0xbf167918, v28
	;; [unrolled: 1-line block ×4, first 2 shown]
	v_add_f32_e32 v18, v26, v87
	v_fmamk_f32 v22, v30, 0x3f737871, v29
	v_fmac_f32_e32 v29, 0xbf737871, v30
	v_fmamk_f32 v26, v31, 0xbf737871, v14
	v_fmac_f32_e32 v14, 0x3f737871, v31
	v_add_f32_e32 v27, v64, v79
	v_fmamk_f32 v28, v105, 0x3f737871, v103
	v_fmamk_f32 v64, v106, 0xbf737871, v15
	v_fmac_f32_e32 v15, 0x3f737871, v106
	v_fmamk_f32 v112, v115, 0xbf737871, v10
	v_fmac_f32_e32 v10, 0x3f737871, v115
	v_sub_f32_e32 v116, v72, v70
	v_sub_f32_e32 v117, v73, v71
	v_add_f32_e32 v11, v11, v100
	v_add_f32_e32 v107, v110, v111
	v_fmac_f32_e32 v103, 0xbf737871, v105
	v_fmamk_f32 v111, v114, 0x3f737871, v65
	v_fmac_f32_e32 v65, 0xbf737871, v114
	v_add_f32_e32 v110, v119, v120
	v_add_f32_e32 v108, v108, v71
	v_fmac_f32_e32 v22, 0x3f167918, v31
	v_fmac_f32_e32 v29, 0xbf167918, v31
	;; [unrolled: 1-line block ×7, first 2 shown]
	v_add_f32_e32 v109, v116, v117
	v_add_f32_e32 v11, v11, v101
	v_fmac_f32_e32 v121, 0x3e9e377a, v20
	v_fmac_f32_e32 v103, 0xbf167918, v106
	;; [unrolled: 1-line block ×13, first 2 shown]
	v_add_f32_e32 v18, v18, v92
	v_add_f32_e32 v20, v27, v83
	;; [unrolled: 1-line block ×3, first 2 shown]
	v_fmac_f32_e32 v22, 0x3e9e377a, v32
	v_fmac_f32_e32 v29, 0x3e9e377a, v32
	;; [unrolled: 1-line block ×12, first 2 shown]
	ds_write2_b32 v68, v11, v121 offset1:30
	ds_write2_b32 v68, v122, v12 offset0:60 offset1:90
	ds_write_b32 v68, v16 offset:480
	ds_write2_b32 v51, v17, v33 offset1:30
	ds_write2_b32 v51, v123, v13 offset0:60 offset1:90
	ds_write_b32 v51, v23 offset:480
	;; [unrolled: 3-line block ×5, first 2 shown]
	s_waitcnt lgkmcnt(0)
	s_barrier
	buffer_gl0_inv
	ds_read2_b32 v[16:17], v56 offset1:90
	ds_read2_b32 v[32:33], v47 offset0:110 offset1:200
	ds_read2_b32 v[30:31], v48 offset0:92 offset1:182
	;; [unrolled: 1-line block ×11, first 2 shown]
	v_lshl_add_u32 v64, v3, 2, 0
	s_and_saveexec_b32 s1, s0
	s_cbranch_execz .LBB0_27
; %bb.26:
	ds_read_b32 v61, v56 offset:5880
	ds_read_b32 v65, v64 offset:2880
	;; [unrolled: 1-line block ×3, first 2 shown]
.LBB0_27:
	s_or_b32 exec_lo, exec_lo, s1
	v_add_f32_e32 v40, v8, v95
	v_add_f32_e32 v39, v96, v93
	v_sub_f32_e32 v41, v98, v101
	v_add_f32_e32 v45, v95, v88
	v_sub_f32_e32 v42, v99, v100
	v_add_f32_e32 v40, v40, v96
	v_fma_f32 v39, -0.5, v39, v8
	v_sub_f32_e32 v43, v95, v96
	v_sub_f32_e32 v44, v88, v93
	;; [unrolled: 1-line block ×3, first 2 shown]
	v_add_f32_e32 v40, v40, v93
	v_fmamk_f32 v47, v41, 0xbf737871, v39
	v_sub_f32_e32 v95, v93, v88
	v_fma_f32 v8, -0.5, v45, v8
	v_fmac_f32_e32 v39, 0x3f737871, v41
	v_add_f32_e32 v40, v40, v88
	v_add_f32_e32 v88, v9, v82
	;; [unrolled: 1-line block ×3, first 2 shown]
	v_fmac_f32_e32 v47, 0xbf167918, v42
	v_fmamk_f32 v44, v42, 0x3f737871, v8
	v_add_f32_e32 v45, v81, v84
	v_fmac_f32_e32 v39, 0x3f167918, v42
	v_fmac_f32_e32 v8, 0xbf737871, v42
	v_add_f32_e32 v42, v88, v81
	v_fmac_f32_e32 v44, 0xbf167918, v41
	v_fma_f32 v45, -0.5, v45, v9
	v_sub_f32_e32 v93, v94, v97
	v_add_f32_e32 v94, v82, v85
	v_fmac_f32_e32 v8, 0x3f167918, v41
	v_add_f32_e32 v41, v42, v84
	v_fmac_f32_e32 v47, 0x3e9e377a, v43
	;; [unrolled: 2-line block ×3, first 2 shown]
	v_fmamk_f32 v43, v93, 0xbf737871, v45
	v_sub_f32_e32 v88, v90, v91
	v_sub_f32_e32 v90, v82, v81
	;; [unrolled: 1-line block ×3, first 2 shown]
	v_fmac_f32_e32 v9, -0.5, v94
	v_add_f32_e32 v41, v41, v85
	v_fmac_f32_e32 v45, 0x3f737871, v93
	v_sub_f32_e32 v81, v81, v82
	v_sub_f32_e32 v82, v84, v85
	v_add_f32_e32 v84, v6, v74
	v_add_f32_e32 v85, v75, v76
	v_fmac_f32_e32 v44, 0x3e9e377a, v46
	v_fmac_f32_e32 v43, 0xbf167918, v88
	v_add_f32_e32 v42, v90, v91
	v_fmac_f32_e32 v8, 0x3e9e377a, v46
	v_fmamk_f32 v46, v88, 0x3f737871, v9
	v_fmac_f32_e32 v45, 0x3f167918, v88
	v_add_f32_e32 v81, v81, v82
	v_fmac_f32_e32 v9, 0xbf737871, v88
	v_add_f32_e32 v82, v84, v75
	v_fma_f32 v84, -0.5, v85, v6
	v_sub_f32_e32 v85, v89, v92
	v_fmac_f32_e32 v43, 0x3e9e377a, v42
	v_fmac_f32_e32 v46, 0xbf167918, v93
	;; [unrolled: 1-line block ×4, first 2 shown]
	v_add_f32_e32 v42, v82, v76
	v_fmamk_f32 v82, v85, 0xbf737871, v84
	v_add_f32_e32 v88, v74, v77
	v_sub_f32_e32 v86, v86, v87
	v_sub_f32_e32 v87, v74, v75
	;; [unrolled: 1-line block ×3, first 2 shown]
	v_fmac_f32_e32 v84, 0x3f737871, v85
	v_sub_f32_e32 v74, v75, v74
	v_sub_f32_e32 v75, v76, v77
	v_add_f32_e32 v76, v38, v66
	v_fmac_f32_e32 v46, 0x3e9e377a, v81
	v_fmac_f32_e32 v9, 0x3e9e377a, v81
	v_fma_f32 v6, -0.5, v88, v6
	v_add_f32_e32 v42, v42, v77
	v_fmac_f32_e32 v82, 0xbf167918, v86
	v_add_f32_e32 v81, v87, v89
	v_fmac_f32_e32 v84, 0x3f167918, v86
	v_add_f32_e32 v74, v74, v75
	v_add_f32_e32 v75, v7, v37
	v_fma_f32 v76, -0.5, v76, v7
	v_sub_f32_e32 v77, v80, v83
	v_fmamk_f32 v87, v86, 0x3f737871, v6
	v_fmac_f32_e32 v82, 0x3e9e377a, v81
	v_fmac_f32_e32 v6, 0xbf737871, v86
	;; [unrolled: 1-line block ×3, first 2 shown]
	v_add_f32_e32 v75, v75, v38
	v_fmamk_f32 v80, v77, 0xbf737871, v76
	v_sub_f32_e32 v78, v78, v79
	v_sub_f32_e32 v79, v37, v38
	;; [unrolled: 1-line block ×3, first 2 shown]
	v_fmac_f32_e32 v76, 0x3f737871, v77
	v_add_f32_e32 v83, v37, v69
	v_fmac_f32_e32 v87, 0xbf167918, v85
	v_fmac_f32_e32 v6, 0x3f167918, v85
	v_add_f32_e32 v75, v75, v66
	v_fmac_f32_e32 v80, 0xbf167918, v78
	v_add_f32_e32 v79, v79, v81
	v_fmac_f32_e32 v76, 0x3f167918, v78
	v_fmac_f32_e32 v7, -0.5, v83
	v_fmac_f32_e32 v87, 0x3e9e377a, v74
	v_fmac_f32_e32 v6, 0x3e9e377a, v74
	v_add_f32_e32 v74, v75, v69
	v_fmac_f32_e32 v80, 0x3e9e377a, v79
	v_fmac_f32_e32 v76, 0x3e9e377a, v79
	v_fmamk_f32 v75, v78, 0x3f737871, v7
	v_add_f32_e32 v79, v35, v36
	v_sub_f32_e32 v37, v38, v37
	v_sub_f32_e32 v38, v66, v69
	v_fmac_f32_e32 v7, 0xbf737871, v78
	v_add_f32_e32 v69, v4, v5
	v_sub_f32_e32 v72, v72, v73
	v_add_f32_e32 v73, v5, v34
	v_fma_f32 v66, -0.5, v79, v4
	v_fmac_f32_e32 v75, 0xbf167918, v77
	v_add_f32_e32 v37, v37, v38
	v_fmac_f32_e32 v7, 0x3f167918, v77
	v_add_f32_e32 v38, v69, v35
	v_sub_f32_e32 v70, v70, v71
	v_fmac_f32_e32 v4, -0.5, v73
	v_fmac_f32_e32 v75, 0x3e9e377a, v37
	v_fmac_f32_e32 v7, 0x3e9e377a, v37
	v_add_f32_e32 v37, v38, v36
	v_sub_f32_e32 v38, v5, v35
	v_fmamk_f32 v73, v70, 0x3f737871, v4
	v_sub_f32_e32 v5, v35, v5
	v_sub_f32_e32 v35, v36, v34
	v_fmac_f32_e32 v4, 0xbf737871, v70
	v_fmamk_f32 v69, v72, 0xbf737871, v66
	v_sub_f32_e32 v71, v34, v36
	v_fmac_f32_e32 v66, 0x3f737871, v72
	v_add_f32_e32 v5, v5, v35
	v_fmac_f32_e32 v4, 0x3f167918, v72
	v_fmac_f32_e32 v69, 0xbf167918, v70
	v_add_f32_e32 v36, v38, v71
	v_fmac_f32_e32 v66, 0x3f167918, v70
	v_fmac_f32_e32 v73, 0xbf167918, v72
	;; [unrolled: 1-line block ×3, first 2 shown]
	v_add_f32_e32 v34, v37, v34
	v_fmac_f32_e32 v69, 0x3e9e377a, v36
	v_fmac_f32_e32 v66, 0x3e9e377a, v36
	;; [unrolled: 1-line block ×3, first 2 shown]
	s_waitcnt lgkmcnt(0)
	s_barrier
	buffer_gl0_inv
	ds_write2_b32 v68, v40, v47 offset1:30
	ds_write2_b32 v68, v44, v8 offset0:60 offset1:90
	ds_write_b32 v68, v39 offset:480
	ds_write2_b32 v51, v41, v43 offset1:30
	ds_write2_b32 v51, v46, v9 offset0:60 offset1:90
	ds_write_b32 v51, v45 offset:480
	;; [unrolled: 3-line block ×5, first 2 shown]
	v_add_nc_u32_e32 v4, 0xa00, v56
	s_waitcnt lgkmcnt(0)
	s_barrier
	buffer_gl0_inv
	ds_read2_b32 v[34:35], v56 offset1:90
	ds_read2_b32 v[44:45], v4 offset0:110 offset1:200
	v_add_nc_u32_e32 v4, 0x200, v56
	v_add_nc_u32_e32 v5, 0xc00, v56
	;; [unrolled: 1-line block ×4, first 2 shown]
	ds_read2_b32 v[50:51], v48 offset0:92 offset1:182
	ds_read2_b32 v[36:37], v4 offset0:52 offset1:142
	;; [unrolled: 1-line block ×5, first 2 shown]
	v_add_nc_u32_e32 v6, 0x1000, v56
	v_add_nc_u32_e32 v7, 0x1c00, v56
	;; [unrolled: 1-line block ×5, first 2 shown]
	ds_read2_b32 v[42:43], v6 offset0:86 offset1:176
	ds_read2_b32 v[40:41], v7 offset0:68 offset1:158
	;; [unrolled: 1-line block ×5, first 2 shown]
	s_and_saveexec_b32 s1, s0
	s_cbranch_execz .LBB0_29
; %bb.28:
	ds_read_b32 v63, v56 offset:5880
	ds_read_b32 v66, v64 offset:2880
	;; [unrolled: 1-line block ×3, first 2 shown]
.LBB0_29:
	s_or_b32 exec_lo, exec_lo, s1
	v_lshlrev_b32_e32 v67, 1, v3
	v_mov_b32_e32 v68, 0
	v_subrev_nc_u32_e32 v71, 60, v3
	v_cmp_gt_u32_e64 s1, 60, v3
	v_lshrrev_b16 v73, 1, v53
	v_mov_b32_e32 v74, 0xda75
	v_lshlrev_b64 v[69:70], 3, v[67:68]
	v_add_nc_u32_e32 v67, 60, v67
	v_mov_b32_e32 v72, v68
	v_cndmask_b32_e64 v75, v71, v54, s1
	v_mul_u32_u24_sdwa v73, v73, v74 dst_sel:DWORD dst_unused:UNUSED_PAD src0_sel:WORD_0 src1_sel:DWORD
	v_lshlrev_b64 v[67:68], 3, v[67:68]
	v_add_co_u32 v69, s1, s8, v69
	v_add_co_ci_u32_e64 v70, s1, s9, v70, s1
	v_lshlrev_b32_e32 v71, 1, v75
	v_add_co_u32 v67, s1, s8, v67
	v_add_co_ci_u32_e64 v68, s1, s9, v68, s1
	s_clause 0x1
	global_load_dwordx4 v[77:80], v[69:70], off offset:1120
	global_load_dwordx4 v[81:84], v[67:68], off offset:1120
	v_lshlrev_b64 v[69:70], 3, v[71:72]
	v_lshrrev_b16 v72, 1, v59
	v_lshrrev_b32_e32 v71, 22, v73
	v_mul_u32_u24_sdwa v72, v72, v74 dst_sel:DWORD dst_unused:UNUSED_PAD src0_sel:WORD_0 src1_sel:DWORD
	v_add_co_u32 v69, s1, s8, v69
	v_add_co_ci_u32_e64 v70, s1, s9, v70, s1
	v_lshrrev_b32_e32 v67, 22, v72
	v_mul_lo_u16 v73, 0x96, v71
	v_lshrrev_b16 v72, 1, v52
	global_load_dwordx4 v[85:88], v[69:70], off offset:1120
	v_lshrrev_b16 v70, 1, v58
	v_mul_lo_u16 v69, 0x96, v67
	v_sub_nc_u16 v68, v53, v73
	v_mov_b32_e32 v73, 4
	v_mul_u32_u24_sdwa v72, v72, v74 dst_sel:DWORD dst_unused:UNUSED_PAD src0_sel:WORD_0 src1_sel:DWORD
	v_cmp_lt_u32_e64 s1, 59, v3
	v_sub_nc_u16 v59, v59, v69
	v_mul_u32_u24_sdwa v69, v70, v74 dst_sel:DWORD dst_unused:UNUSED_PAD src0_sel:WORD_0 src1_sel:DWORD
	v_lshlrev_b32_sdwa v76, v73, v68 dst_sel:DWORD dst_unused:UNUSED_PAD src0_sel:DWORD src1_sel:WORD_0
	v_lshrrev_b32_e32 v70, 22, v72
	v_lshrrev_b16 v72, 1, v57
	v_lshlrev_b32_sdwa v73, v73, v59 dst_sel:DWORD dst_unused:UNUSED_PAD src0_sel:DWORD src1_sel:WORD_0
	v_lshrrev_b32_e32 v69, 22, v69
	global_load_dwordx4 v[89:92], v76, s[8:9] offset:1120
	v_mul_lo_u16 v70, 0x96, v70
	v_mul_u32_u24_sdwa v72, v72, v74 dst_sel:DWORD dst_unused:UNUSED_PAD src0_sel:WORD_0 src1_sel:DWORD
	global_load_dwordx4 v[93:96], v73, s[8:9] offset:1120
	v_lshrrev_b16 v76, 1, v55
	v_mul_lo_u16 v69, 0x96, v69
	v_sub_nc_u16 v70, v52, v70
	v_lshrrev_b32_e32 v72, 22, v72
	v_mul_u32_u24_e32 v71, 0x708, v71
	v_mul_u32_u24_sdwa v73, v76, v74 dst_sel:DWORD dst_unused:UNUSED_PAD src0_sel:WORD_0 src1_sel:DWORD
	v_sub_nc_u16 v58, v58, v69
	v_and_b32_e32 v74, 0xffff, v70
	v_mul_lo_u16 v70, 0x96, v72
	v_mul_u32_u24_e32 v67, 0x708, v67
	v_lshrrev_b32_e32 v69, 22, v73
	v_and_b32_e32 v72, 0xffff, v58
	v_lshlrev_b32_e32 v58, 4, v74
	v_sub_nc_u16 v57, v57, v70
	v_mul_lo_u16 v69, 0x96, v69
	v_lshlrev_b32_e32 v70, 4, v72
	global_load_dwordx4 v[97:100], v58, s[8:9] offset:1120
	v_and_b32_e32 v73, 0xffff, v57
	v_sub_nc_u16 v55, v55, v69
	global_load_dwordx4 v[101:104], v70, s[8:9] offset:1120
	v_cndmask_b32_e64 v69, 0, 0x708, s1
	v_lshlrev_b32_e32 v57, 4, v73
	v_lshlrev_b32_e32 v70, 2, v75
	v_and_b32_e32 v55, 0xffff, v55
	v_add3_u32 v70, 0, v69, v70
	v_lshlrev_b32_e32 v58, 4, v55
	s_clause 0x1
	global_load_dwordx4 v[105:108], v57, s[8:9] offset:1120
	global_load_dwordx4 v[109:112], v58, s[8:9] offset:1120
	v_mov_b32_e32 v57, 2
	s_waitcnt vmcnt(0) lgkmcnt(0)
	s_barrier
	buffer_gl0_inv
	v_add_nc_u32_e32 v58, 0x600, v64
	v_lshlrev_b32_sdwa v68, v57, v68 dst_sel:DWORD dst_unused:UNUSED_PAD src0_sel:DWORD src1_sel:WORD_0
	v_lshlrev_b32_sdwa v57, v57, v59 dst_sel:DWORD dst_unused:UNUSED_PAD src0_sel:DWORD src1_sel:WORD_0
	v_lshl_add_u32 v59, v72, 2, 0
	v_lshl_add_u32 v55, v55, 2, 0
	v_add3_u32 v69, 0, v71, v68
	v_lshl_add_u32 v68, v74, 2, 0
	v_add3_u32 v57, 0, v67, v57
	v_lshl_add_u32 v67, v73, 2, 0
	v_add_nc_u32_e32 v113, 0x1400, v59
	v_add_nc_u32_e32 v71, 0xe00, v68
	;; [unrolled: 1-line block ×3, first 2 shown]
	v_mul_f32_e32 v72, v44, v78
	v_mul_f32_e32 v74, v50, v80
	;; [unrolled: 1-line block ×4, first 2 shown]
	v_fma_f32 v76, v32, v77, -v72
	v_fma_f32 v78, v30, v79, -v74
	v_fmac_f32_e32 v73, v50, v79
	v_mul_f32_e32 v50, v28, v82
	v_mul_f32_e32 v72, v46, v84
	;; [unrolled: 1-line block ×4, first 2 shown]
	v_fmac_f32_e32 v75, v44, v77
	v_fmac_f32_e32 v50, v48, v81
	v_fma_f32 v48, v26, v83, -v72
	v_fmac_f32_e32 v30, v46, v83
	v_fma_f32 v44, v28, v81, -v32
	v_add_f32_e32 v81, v76, v78
	v_mul_f32_e32 v79, v45, v86
	v_mul_f32_e32 v80, v51, v88
	;; [unrolled: 1-line block ×4, first 2 shown]
	v_add_f32_e32 v32, v16, v76
	v_fma_f32 v79, v33, v85, -v79
	v_fma_f32 v80, v31, v87, -v80
	v_fmac_f32_e32 v74, v51, v87
	v_sub_f32_e32 v82, v75, v73
	v_fma_f32 v81, -0.5, v81, v16
	v_add_f32_e32 v87, v44, v48
	v_fmac_f32_e32 v77, v45, v85
	v_add_f32_e32 v33, v14, v44
	v_add_f32_e32 v85, v32, v78
	v_mul_f32_e32 v83, v49, v90
	v_mul_f32_e32 v72, v29, v90
	;; [unrolled: 1-line block ×8, first 2 shown]
	v_fma_f32 v51, v29, v89, -v83
	v_fmac_f32_e32 v72, v49, v89
	v_fma_f32 v49, v27, v91, -v84
	v_fmac_f32_e32 v46, v47, v91
	;; [unrolled: 2-line block ×4, first 2 shown]
	v_add_f32_e32 v95, v79, v80
	v_fmamk_f32 v94, v82, 0x3f5db3d7, v81
	v_fmac_f32_e32 v81, 0xbf5db3d7, v82
	v_fma_f32 v87, -0.5, v87, v14
	v_add_f32_e32 v82, v17, v79
	v_mul_f32_e32 v83, v42, v98
	v_mul_f32_e32 v47, v24, v98
	;; [unrolled: 1-line block ×6, first 2 shown]
	v_fma_f32 v24, v24, v97, -v83
	v_fmac_f32_e32 v47, v42, v97
	v_fma_f32 v42, v22, v99, -v84
	v_mul_f32_e32 v45, v25, v102
	v_mul_f32_e32 v27, v23, v104
	v_fma_f32 v20, v25, v101, -v89
	v_fma_f32 v22, v23, v103, -v91
	v_sub_f32_e32 v96, v77, v74
	v_add_f32_e32 v98, v33, v48
	v_fmac_f32_e32 v29, v40, v99
	v_mul_f32_e32 v86, v9, v106
	v_mul_f32_e32 v18, v21, v106
	;; [unrolled: 1-line block ×5, first 2 shown]
	v_fma_f32 v14, v21, v105, -v86
	v_fmac_f32_e32 v18, v9, v105
	v_fma_f32 v9, v19, v107, -v88
	v_add_f32_e32 v19, v51, v49
	v_mul_f32_e32 v32, v61, v110
	v_mul_f32_e32 v31, v60, v112
	v_fma_f32 v33, v61, v109, -v92
	v_fmac_f32_e32 v17, -0.5, v95
	v_add_f32_e32 v61, v24, v42
	v_sub_f32_e32 v90, v50, v30
	v_mul_f32_e32 v93, v62, v112
	v_fmac_f32_e32 v45, v43, v101
	v_fmac_f32_e32 v27, v41, v103
	v_add_f32_e32 v25, v16, v8
	ds_write2_b32 v56, v85, v94 offset1:150
	ds_write_b32 v56, v81 offset:1200
	v_add_f32_e32 v81, v20, v22
	v_fmac_f32_e32 v6, v7, v107
	v_add_f32_e32 v7, v15, v51
	v_sub_f32_e32 v21, v72, v46
	v_fmac_f32_e32 v15, -0.5, v19
	v_add_f32_e32 v83, v14, v9
	v_fmac_f32_e32 v31, v62, v111
	v_add_f32_e32 v43, v82, v80
	v_add_f32_e32 v19, v12, v24
	v_sub_f32_e32 v62, v47, v29
	v_fmamk_f32 v85, v96, 0x3f5db3d7, v17
	v_fma_f32 v12, -0.5, v61, v12
	v_fmac_f32_e32 v17, 0xbf5db3d7, v96
	v_fmac_f32_e32 v32, v63, v109
	v_fma_f32 v40, v60, v111, -v93
	v_add_f32_e32 v23, v10, v16
	v_sub_f32_e32 v41, v28, v26
	v_fmamk_f32 v60, v90, 0x3f5db3d7, v87
	v_add_f32_e32 v63, v13, v20
	v_sub_f32_e32 v82, v45, v27
	v_fma_f32 v10, -0.5, v25, v10
	v_fmac_f32_e32 v13, -0.5, v81
	v_fmac_f32_e32 v87, 0xbf5db3d7, v90
	v_add_f32_e32 v7, v7, v49
	v_add_f32_e32 v25, v11, v14
	v_sub_f32_e32 v84, v18, v6
	v_fmamk_f32 v86, v21, 0x3f5db3d7, v15
	v_fmac_f32_e32 v11, -0.5, v83
	v_fmac_f32_e32 v15, 0xbf5db3d7, v21
	v_add_f32_e32 v19, v19, v42
	ds_write2_b32 v70, v43, v85 offset1:150
	ds_write_b32 v70, v17 offset:1200
	ds_write2_b32 v58, v98, v60 offset0:96 offset1:246
	ds_write_b32 v64, v87 offset:3120
	v_fmamk_f32 v17, v62, 0x3f5db3d7, v12
	v_fmac_f32_e32 v12, 0xbf5db3d7, v62
	v_add_f32_e32 v21, v63, v22
	v_fmamk_f32 v61, v41, 0x3f5db3d7, v10
	v_fmac_f32_e32 v10, 0xbf5db3d7, v41
	v_fmamk_f32 v41, v82, 0x3f5db3d7, v13
	v_add_f32_e32 v23, v23, v8
	v_add_f32_e32 v25, v25, v9
	v_fmac_f32_e32 v13, 0xbf5db3d7, v82
	v_fmamk_f32 v43, v84, 0x3f5db3d7, v11
	v_fmac_f32_e32 v11, 0xbf5db3d7, v84
	ds_write2_b32 v69, v7, v86 offset1:150
	ds_write_b32 v69, v15 offset:1200
	ds_write2_b32 v71, v19, v17 offset0:4 offset1:154
	ds_write_b32 v68, v12 offset:4800
	ds_write2_b32 v113, v21, v41 offset0:70 offset1:220
	ds_write_b32 v59, v13 offset:6600
	ds_write2_b32 v57, v23, v61 offset1:150
	ds_write_b32 v57, v10 offset:1200
	ds_write2_b32 v114, v25, v43 offset0:8 offset1:158
	ds_write_b32 v67, v11 offset:8400
	s_and_saveexec_b32 s1, s0
	s_cbranch_execz .LBB0_31
; %bb.30:
	v_add_f32_e32 v7, v33, v40
	v_sub_f32_e32 v10, v32, v31
	v_add_f32_e32 v11, v65, v33
	v_add_nc_u32_e32 v12, 0x1c00, v55
	v_fma_f32 v7, -0.5, v7, v65
	v_add_f32_e32 v11, v11, v40
	v_fmamk_f32 v13, v10, 0xbf5db3d7, v7
	v_fmac_f32_e32 v7, 0x3f5db3d7, v10
	ds_write2_b32 v12, v11, v7 offset0:8 offset1:158
	ds_write_b32 v55, v13 offset:8400
.LBB0_31:
	s_or_b32 exec_lo, exec_lo, s1
	v_add_f32_e32 v7, v75, v73
	v_add_f32_e32 v10, v34, v75
	v_sub_f32_e32 v11, v76, v78
	v_add_f32_e32 v12, v77, v74
	v_sub_f32_e32 v13, v79, v80
	v_fma_f32 v34, -0.5, v7, v34
	v_add_f32_e32 v7, v35, v77
	v_add_f32_e32 v41, v10, v73
	;; [unrolled: 1-line block ×3, first 2 shown]
	v_fmac_f32_e32 v35, -0.5, v12
	v_fmamk_f32 v43, v11, 0xbf5db3d7, v34
	v_add_f32_e32 v60, v7, v74
	v_add_f32_e32 v7, v50, v30
	v_fmac_f32_e32 v34, 0x3f5db3d7, v11
	v_add_f32_e32 v11, v72, v46
	v_sub_f32_e32 v9, v14, v9
	v_add_nc_u32_e32 v17, 0x800, v56
	v_fma_f32 v36, -0.5, v7, v36
	v_sub_f32_e32 v7, v44, v48
	v_add_f32_e32 v44, v10, v30
	v_add_f32_e32 v10, v37, v72
	v_fmac_f32_e32 v37, -0.5, v11
	v_sub_f32_e32 v11, v51, v49
	v_fmamk_f32 v48, v7, 0xbf5db3d7, v36
	v_fmac_f32_e32 v36, 0x3f5db3d7, v7
	v_add_f32_e32 v7, v47, v29
	v_add_f32_e32 v46, v10, v46
	;; [unrolled: 1-line block ×3, first 2 shown]
	v_fmamk_f32 v49, v11, 0xbf5db3d7, v37
	v_fmac_f32_e32 v37, 0x3f5db3d7, v11
	v_add_f32_e32 v11, v45, v27
	v_fma_f32 v4, -0.5, v7, v4
	v_sub_f32_e32 v7, v24, v42
	v_add_f32_e32 v42, v10, v29
	v_add_f32_e32 v10, v5, v45
	v_fmac_f32_e32 v5, -0.5, v11
	v_sub_f32_e32 v11, v20, v22
	v_fmamk_f32 v45, v7, 0xbf5db3d7, v4
	v_fmac_f32_e32 v4, 0x3f5db3d7, v7
	v_add_f32_e32 v7, v28, v26
	v_add_f32_e32 v47, v10, v27
	;; [unrolled: 1-line block ×3, first 2 shown]
	v_fmamk_f32 v50, v11, 0xbf5db3d7, v5
	v_fmac_f32_e32 v5, 0x3f5db3d7, v11
	v_add_f32_e32 v11, v38, v28
	v_fma_f32 v38, -0.5, v7, v38
	v_sub_f32_e32 v7, v16, v8
	v_add_f32_e32 v8, v39, v18
	v_fmac_f32_e32 v39, -0.5, v10
	v_add_nc_u32_e32 v10, 0xc00, v56
	v_add_f32_e32 v51, v11, v26
	v_add_nc_u32_e32 v11, 0x1200, v56
	v_add_f32_e32 v63, v8, v6
	v_add_nc_u32_e32 v8, 0x400, v56
	v_add_nc_u32_e32 v16, 0x1c00, v56
	;; [unrolled: 1-line block ×3, first 2 shown]
	v_fmamk_f32 v61, v13, 0xbf5db3d7, v35
	v_fmac_f32_e32 v35, 0x3f5db3d7, v13
	v_fmamk_f32 v62, v7, 0xbf5db3d7, v38
	v_fmac_f32_e32 v38, 0x3f5db3d7, v7
	;; [unrolled: 2-line block ×3, first 2 shown]
	s_waitcnt lgkmcnt(0)
	s_barrier
	buffer_gl0_inv
	ds_read2_b32 v[6:7], v56 offset1:90
	ds_read2_b32 v[8:9], v8 offset0:104 offset1:194
	ds_read2_b32 v[14:15], v10 offset0:132 offset1:222
	;; [unrolled: 1-line block ×6, first 2 shown]
	v_add_nc_u32_e32 v16, 0x200, v56
	v_add_nc_u32_e32 v22, 0x1000, v56
	;; [unrolled: 1-line block ×5, first 2 shown]
	ds_read2_b32 v[16:17], v16 offset0:52 offset1:142
	ds_read2_b32 v[22:23], v22 offset0:56 offset1:146
	;; [unrolled: 1-line block ×5, first 2 shown]
	ds_read_b32 v30, v56 offset:8640
	s_waitcnt lgkmcnt(0)
	s_barrier
	buffer_gl0_inv
	ds_write2_b32 v56, v41, v43 offset1:150
	ds_write_b32 v56, v34 offset:1200
	ds_write2_b32 v70, v60, v61 offset1:150
	ds_write_b32 v70, v35 offset:1200
	ds_write2_b32 v58, v44, v48 offset0:96 offset1:246
	ds_write_b32 v64, v36 offset:3120
	ds_write2_b32 v69, v46, v49 offset1:150
	v_add_nc_u32_e32 v34, 0x1400, v59
	ds_write_b32 v69, v37 offset:1200
	ds_write2_b32 v71, v42, v45 offset0:4 offset1:154
	ds_write_b32 v68, v4 offset:4800
	v_add_nc_u32_e32 v4, 0x1c00, v67
	ds_write2_b32 v34, v47, v50 offset0:70 offset1:220
	ds_write_b32 v59, v5 offset:6600
	ds_write2_b32 v57, v51, v62 offset1:150
	ds_write_b32 v57, v38 offset:1200
	ds_write2_b32 v4, v63, v65 offset0:8 offset1:158
	ds_write_b32 v67, v39 offset:8400
	s_and_saveexec_b32 s1, s0
	s_cbranch_execz .LBB0_33
; %bb.32:
	v_add_f32_e32 v4, v32, v31
	v_add_f32_e32 v5, v66, v32
	v_sub_f32_e32 v32, v33, v40
	v_fmac_f32_e32 v66, -0.5, v4
	v_add_nc_u32_e32 v4, 0x1c00, v55
	v_add_f32_e32 v5, v5, v31
	v_fmamk_f32 v31, v32, 0xbf5db3d7, v66
	v_fmamk_f32 v32, v32, 0x3f5db3d7, v66
	ds_write2_b32 v4, v5, v31 offset0:8 offset1:158
	ds_write_b32 v55, v32 offset:8400
.LBB0_33:
	s_or_b32 exec_lo, exec_lo, s1
	s_waitcnt lgkmcnt(0)
	s_barrier
	buffer_gl0_inv
	s_and_saveexec_b32 s0, vcc_lo
	s_cbranch_execz .LBB0_35
; %bb.34:
	v_lshlrev_b32_e32 v4, 2, v52
	v_mov_b32_e32 v5, 0
	v_add_nc_u32_e32 v79, 0x1800, v56
	v_add_nc_u32_e32 v87, 0x1e00, v56
	;; [unrolled: 1-line block ×4, first 2 shown]
	v_lshlrev_b64 v[31:32], 3, v[4:5]
	v_lshlrev_b32_e32 v4, 2, v53
	v_add_nc_u32_e32 v93, 0x1400, v56
	v_add_nc_u32_e32 v95, 0xc00, v56
	;; [unrolled: 1-line block ×3, first 2 shown]
	v_add_co_u32 v33, vcc_lo, s8, v31
	v_add_co_ci_u32_e32 v34, vcc_lo, s9, v32, vcc_lo
	v_lshlrev_b64 v[39:40], 3, v[4:5]
	v_add_co_u32 v31, vcc_lo, 0x800, v33
	v_add_co_ci_u32_e32 v32, vcc_lo, 0, v34, vcc_lo
	v_add_co_u32 v35, vcc_lo, 0xdc0, v33
	v_add_co_ci_u32_e32 v36, vcc_lo, 0, v34, vcc_lo
	;; [unrolled: 2-line block ×3, first 2 shown]
	s_clause 0x1
	global_load_dwordx4 v[31:34], v[31:32], off offset:1472
	global_load_dwordx4 v[35:38], v[35:36], off offset:16
	v_add_co_u32 v39, vcc_lo, 0x800, v4
	v_add_co_ci_u32_e32 v40, vcc_lo, 0, v41, vcc_lo
	v_add_co_u32 v43, vcc_lo, 0xdc0, v4
	v_lshlrev_b32_e32 v4, 2, v0
	v_add_co_ci_u32_e32 v44, vcc_lo, 0, v41, vcc_lo
	s_clause 0x1
	global_load_dwordx4 v[39:42], v[39:40], off offset:1472
	global_load_dwordx4 v[43:46], v[43:44], off offset:16
	v_lshlrev_b64 v[47:48], 3, v[4:5]
	v_mul_hi_u32 v0, 0x91a2b3c5, v0
	v_add_co_u32 v4, vcc_lo, s8, v47
	v_add_co_ci_u32_e32 v49, vcc_lo, s9, v48, vcc_lo
	v_lshrrev_b32_e32 v0, 8, v0
	v_add_co_u32 v47, vcc_lo, 0x800, v4
	v_add_co_ci_u32_e32 v48, vcc_lo, 0, v49, vcc_lo
	v_add_co_u32 v57, vcc_lo, 0xdc0, v4
	v_lshlrev_b32_e32 v4, 2, v54
	v_add_co_ci_u32_e32 v58, vcc_lo, 0, v49, vcc_lo
	s_clause 0x1
	global_load_dwordx4 v[47:50], v[47:48], off offset:1472
	global_load_dwordx4 v[57:60], v[57:58], off offset:16
	v_lshlrev_b64 v[54:55], 3, v[4:5]
	v_add_co_u32 v4, vcc_lo, s8, v54
	v_add_co_ci_u32_e32 v51, vcc_lo, s9, v55, vcc_lo
	v_add_co_u32 v54, vcc_lo, 0x800, v4
	v_add_co_ci_u32_e32 v55, vcc_lo, 0, v51, vcc_lo
	;; [unrolled: 2-line block ×3, first 2 shown]
	s_clause 0x1
	global_load_dwordx4 v[61:64], v[54:55], off offset:1472
	global_load_dwordx4 v[65:68], v[65:66], off offset:16
	v_lshlrev_b32_e32 v4, 2, v3
	v_lshlrev_b64 v[54:55], 3, v[4:5]
	v_add_co_u32 v4, vcc_lo, s8, v54
	v_add_co_ci_u32_e32 v51, vcc_lo, s9, v55, vcc_lo
	v_add_co_u32 v54, vcc_lo, 0x800, v4
	v_add_co_ci_u32_e32 v55, vcc_lo, 0, v51, vcc_lo
	;; [unrolled: 2-line block ×3, first 2 shown]
	s_clause 0x1
	global_load_dwordx4 v[69:72], v[54:55], off offset:1472
	global_load_dwordx4 v[73:76], v[73:74], off offset:16
	v_add_nc_u32_e32 v4, 0x1200, v56
	v_add_nc_u32_e32 v51, 0xa00, v56
	ds_read_b32 v99, v56 offset:8640
	ds_read2_b32 v[54:55], v4 offset0:108 offset1:198
	ds_read2_b32 v[77:78], v51 offset0:80 offset1:170
	;; [unrolled: 1-line block ×3, first 2 shown]
	v_add_nc_u32_e32 v4, 0x400, v56
	v_add_nc_u32_e32 v51, 0x1000, v56
	ds_read2_b32 v[81:82], v56 offset1:90
	ds_read2_b32 v[83:84], v4 offset0:104 offset1:194
	ds_read2_b32 v[85:86], v51 offset0:56 offset1:146
	;; [unrolled: 1-line block ×8, first 2 shown]
	s_waitcnt vmcnt(9) lgkmcnt(11)
	v_mul_f32_e32 v4, v33, v54
	s_waitcnt lgkmcnt(10)
	v_mul_f32_e32 v51, v31, v78
	s_waitcnt vmcnt(8) lgkmcnt(9)
	v_mul_f32_e32 v56, v35, v80
	v_mul_f32_e32 v100, v37, v99
	;; [unrolled: 1-line block ×6, first 2 shown]
	v_fmac_f32_e32 v4, v12, v34
	v_fmac_f32_e32 v51, v29, v32
	;; [unrolled: 1-line block ×4, first 2 shown]
	v_fma_f32 v29, v29, v31, -v78
	v_fma_f32 v34, v30, v37, -v99
	;; [unrolled: 1-line block ×4, first 2 shown]
	s_waitcnt vmcnt(7) lgkmcnt(6)
	v_mul_f32_e32 v31, v41, v86
	v_mul_f32_e32 v32, v39, v77
	s_waitcnt vmcnt(6)
	v_mul_f32_e32 v33, v43, v79
	s_waitcnt lgkmcnt(5)
	v_mul_f32_e32 v37, v45, v88
	v_mul_f32_e32 v27, v40, v77
	;; [unrolled: 1-line block ×5, first 2 shown]
	v_sub_f32_e32 v54, v4, v51
	v_sub_f32_e32 v77, v56, v100
	;; [unrolled: 1-line block ×3, first 2 shown]
	v_add_f32_e32 v79, v51, v100
	v_sub_f32_e32 v86, v51, v4
	v_sub_f32_e32 v88, v100, v56
	v_add_f32_e32 v99, v4, v56
	v_add_f32_e32 v101, v51, v83
	v_sub_f32_e32 v102, v12, v29
	v_sub_f32_e32 v103, v30, v34
	v_add_f32_e32 v104, v29, v34
	v_sub_f32_e32 v106, v29, v12
	v_sub_f32_e32 v107, v34, v30
	v_add_f32_e32 v108, v12, v30
	v_add_f32_e32 v29, v8, v29
	v_fmac_f32_e32 v31, v23, v42
	v_fmac_f32_e32 v32, v28, v40
	;; [unrolled: 1-line block ×4, first 2 shown]
	v_fma_f32 v39, v28, v39, -v27
	v_fma_f32 v40, v25, v45, -v35
	;; [unrolled: 1-line block ×4, first 2 shown]
	s_waitcnt vmcnt(5)
	v_mul_f32_e32 v38, v49, v85
	s_waitcnt lgkmcnt(3)
	v_mul_f32_e32 v41, v47, v92
	s_waitcnt vmcnt(4) lgkmcnt(2)
	v_mul_f32_e32 v42, v57, v94
	v_mul_f32_e32 v45, v59, v87
	v_mul_f32_e32 v23, v48, v92
	v_mul_f32_e32 v43, v60, v87
	v_mul_f32_e32 v44, v50, v85
	v_mul_f32_e32 v46, v58, v94
	v_sub_f32_e32 v80, v12, v30
	v_sub_f32_e32 v105, v4, v56
	v_add_f32_e32 v54, v54, v77
	v_fma_f32 v26, -0.5, v79, v83
	v_add_f32_e32 v77, v86, v88
	v_fma_f32 v28, -0.5, v99, v83
	v_add_f32_e32 v4, v4, v101
	v_add_f32_e32 v79, v102, v103
	v_fma_f32 v25, -0.5, v104, v8
	v_add_f32_e32 v83, v106, v107
	v_fma_f32 v27, -0.5, v108, v8
	v_add_f32_e32 v8, v12, v29
	v_sub_f32_e32 v12, v31, v32
	v_sub_f32_e32 v29, v33, v37
	;; [unrolled: 1-line block ×3, first 2 shown]
	v_add_f32_e32 v86, v32, v37
	v_sub_f32_e32 v88, v32, v31
	v_sub_f32_e32 v92, v37, v33
	v_add_f32_e32 v94, v31, v33
	v_add_f32_e32 v99, v32, v90
	v_sub_f32_e32 v101, v35, v39
	v_sub_f32_e32 v102, v36, v40
	v_add_f32_e32 v103, v39, v40
	v_sub_f32_e32 v107, v39, v35
	v_sub_f32_e32 v108, v40, v36
	v_add_f32_e32 v39, v17, v39
	v_fmac_f32_e32 v38, v22, v50
	v_fmac_f32_e32 v41, v21, v48
	v_fmac_f32_e32 v42, v19, v58
	v_fmac_f32_e32 v45, v24, v60
	v_fma_f32 v47, v21, v47, -v23
	v_fma_f32 v48, v24, v59, -v43
	;; [unrolled: 1-line block ×4, first 2 shown]
	s_waitcnt vmcnt(3)
	v_mul_f32_e32 v49, v61, v91
	s_waitcnt vmcnt(2) lgkmcnt(0)
	v_mul_f32_e32 v58, v67, v98
	v_sub_f32_e32 v51, v51, v100
	v_sub_f32_e32 v87, v35, v36
	;; [unrolled: 1-line block ×3, first 2 shown]
	v_add_f32_e32 v109, v35, v36
	v_mul_f32_e32 v46, v63, v96
	v_mul_f32_e32 v57, v65, v93
	;; [unrolled: 1-line block ×6, first 2 shown]
	v_add_f32_e32 v4, v56, v4
	v_fmamk_f32 v23, v105, 0x3f737871, v25
	v_fmac_f32_e32 v25, 0xbf737871, v105
	v_add_f32_e32 v8, v8, v30
	v_add_f32_e32 v56, v12, v29
	v_fma_f32 v30, -0.5, v86, v90
	v_add_f32_e32 v86, v88, v92
	v_fma_f32 v32, -0.5, v94, v90
	v_add_f32_e32 v88, v31, v99
	v_add_f32_e32 v90, v101, v102
	v_fma_f32 v29, -0.5, v103, v17
	v_add_f32_e32 v91, v107, v108
	v_add_f32_e32 v35, v35, v39
	v_sub_f32_e32 v39, v38, v41
	v_sub_f32_e32 v92, v42, v45
	;; [unrolled: 1-line block ×3, first 2 shown]
	v_add_f32_e32 v94, v41, v45
	v_sub_f32_e32 v98, v41, v38
	v_add_f32_e32 v102, v41, v89
	v_sub_f32_e32 v103, v43, v47
	;; [unrolled: 2-line block ×3, first 2 shown]
	v_sub_f32_e32 v41, v47, v43
	v_sub_f32_e32 v111, v48, v44
	v_add_f32_e32 v47, v16, v47
	v_fmac_f32_e32 v49, v20, v62
	v_fmac_f32_e32 v58, v11, v68
	v_fmamk_f32 v24, v80, 0xbf737871, v26
	v_fmac_f32_e32 v26, 0x3f737871, v80
	v_fmamk_f32 v21, v51, 0xbf737871, v27
	v_fmac_f32_e32 v27, 0x3f737871, v51
	v_add_f32_e32 v112, v43, v44
	v_fmac_f32_e32 v46, v15, v64
	v_fmac_f32_e32 v57, v18, v66
	v_fma_f32 v62, v11, v67, -v50
	v_fma_f32 v59, v15, v63, -v59
	;; [unrolled: 1-line block ×3, first 2 shown]
	v_add_f32_e32 v12, v100, v4
	v_fmac_f32_e32 v23, 0xbf167918, v51
	v_fmac_f32_e32 v25, 0x3f167918, v51
	v_add_f32_e32 v11, v8, v34
	v_add_f32_e32 v4, v33, v88
	;; [unrolled: 1-line block ×8, first 2 shown]
	v_sub_f32_e32 v104, v31, v33
	v_fmamk_f32 v22, v78, 0x3f737871, v28
	v_fmac_f32_e32 v28, 0xbf737871, v78
	v_fma_f32 v31, -0.5, v109, v17
	v_sub_f32_e32 v96, v43, v44
	v_sub_f32_e32 v99, v45, v42
	v_add_f32_e32 v101, v38, v42
	v_sub_f32_e32 v109, v38, v42
	v_fma_f32 v61, v20, v61, -v19
	v_fmac_f32_e32 v24, 0x3f167918, v78
	v_fmac_f32_e32 v26, 0xbf167918, v78
	v_fma_f32 v34, -0.5, v94, v89
	v_fma_f32 v33, -0.5, v108, v16
	;; [unrolled: 1-line block ×3, first 2 shown]
	v_sub_f32_e32 v43, v46, v49
	v_sub_f32_e32 v47, v57, v58
	;; [unrolled: 1-line block ×3, first 2 shown]
	v_add_f32_e32 v88, v49, v82
	v_add_f32_e32 v16, v37, v4
	;; [unrolled: 1-line block ×5, first 2 shown]
	v_fma_f32 v42, -0.5, v50, v82
	v_sub_f32_e32 v107, v44, v48
	v_fmac_f32_e32 v22, 0x3f167918, v80
	v_fmac_f32_e32 v28, 0xbf167918, v80
	v_add_f32_e32 v63, v98, v99
	v_sub_f32_e32 v66, v61, v62
	v_sub_f32_e32 v68, v49, v46
	v_add_f32_e32 v80, v46, v57
	v_sub_f32_e32 v98, v46, v57
	v_fmac_f32_e32 v24, 0x3e9e377a, v54
	v_fmac_f32_e32 v26, 0x3e9e377a, v54
	v_fmamk_f32 v38, v96, 0xbf737871, v34
	v_fmac_f32_e32 v34, 0x3f737871, v96
	v_add_f32_e32 v54, v43, v47
	v_add_f32_e32 v47, v46, v88
	;; [unrolled: 1-line block ×4, first 2 shown]
	v_fmamk_f32 v48, v67, 0xbf737871, v42
	v_fmac_f32_e32 v42, 0x3f737871, v67
	v_fmamk_f32 v18, v87, 0xbf737871, v30
	v_fmac_f32_e32 v30, 0x3f737871, v87
	v_fma_f32 v36, -0.5, v101, v89
	v_fmac_f32_e32 v38, 0x3f167918, v93
	v_fmac_f32_e32 v34, 0xbf167918, v93
	v_fmac_f32_e32 v48, 0x3f167918, v66
	v_fmac_f32_e32 v42, 0xbf167918, v66
	v_fmac_f32_e32 v18, 0x3f167918, v85
	v_fmac_f32_e32 v30, 0xbf167918, v85
	v_fmamk_f32 v40, v93, 0x3f737871, v36
	v_fmac_f32_e32 v36, 0xbf737871, v93
	v_fmamk_f32 v37, v109, 0x3f737871, v33
	v_fmac_f32_e32 v33, 0xbf737871, v109
	;; [unrolled: 2-line block ×3, first 2 shown]
	v_add_f32_e32 v4, v57, v47
	v_fmac_f32_e32 v38, 0x3e9e377a, v51
	v_fmac_f32_e32 v34, 0x3e9e377a, v51
	;; [unrolled: 1-line block ×4, first 2 shown]
	s_waitcnt vmcnt(1)
	v_mul_f32_e32 v51, v69, v84
	s_waitcnt vmcnt(0)
	v_mul_f32_e32 v54, v75, v97
	v_add_f32_e32 v64, v103, v107
	v_sub_f32_e32 v78, v58, v57
	v_add_f32_e32 v94, v61, v62
	v_add_f32_e32 v101, v59, v60
	v_fmac_f32_e32 v18, 0x3e9e377a, v56
	v_fmac_f32_e32 v30, 0x3e9e377a, v56
	;; [unrolled: 1-line block ×8, first 2 shown]
	v_add_f32_e32 v8, v58, v4
	v_mul_f32_e32 v4, v71, v95
	v_fmac_f32_e32 v51, v9, v70
	v_mul_f32_e32 v56, v73, v55
	v_fmac_f32_e32 v54, v10, v76
	v_mul_f32_e32 v57, v72, v95
	v_mul_f32_e32 v55, v74, v55
	v_sub_f32_e32 v89, v59, v61
	v_sub_f32_e32 v99, v49, v58
	;; [unrolled: 1-line block ×3, first 2 shown]
	v_fma_f32 v41, -0.5, v94, v7
	v_fma_f32 v43, -0.5, v101, v7
	v_fmac_f32_e32 v40, 0x3e9e377a, v63
	v_fmac_f32_e32 v36, 0x3e9e377a, v63
	;; [unrolled: 1-line block ×6, first 2 shown]
	v_add_f32_e32 v7, v7, v61
	v_fmac_f32_e32 v4, v14, v72
	v_mul_f32_e32 v58, v70, v84
	v_mul_f32_e32 v61, v76, v97
	v_add_f32_e32 v63, v51, v54
	v_fma_f32 v64, v14, v71, -v57
	v_fma_f32 v65, v13, v73, -v55
	v_fmac_f32_e32 v56, v13, v74
	v_fma_f32 v58, v9, v69, -v58
	v_fma_f32 v61, v10, v75, -v61
	v_fma_f32 v10, -0.5, v63, v81
	v_sub_f32_e32 v9, v64, v65
	v_sub_f32_e32 v13, v4, v51
	;; [unrolled: 1-line block ×3, first 2 shown]
	v_add_f32_e32 v57, v4, v56
	v_add_f32_e32 v7, v59, v7
	v_sub_f32_e32 v59, v58, v61
	v_fmamk_f32 v14, v9, 0xbf737871, v10
	v_add_f32_e32 v13, v13, v55
	v_fmac_f32_e32 v10, 0x3f737871, v9
	v_fma_f32 v55, -0.5, v57, v81
	v_add_f32_e32 v7, v7, v60
	v_fmac_f32_e32 v14, 0x3f167918, v59
	v_sub_f32_e32 v92, v60, v62
	v_fmac_f32_e32 v10, 0xbf167918, v59
	v_fmamk_f32 v57, v59, 0x3f737871, v55
	v_fmac_f32_e32 v55, 0xbf737871, v59
	v_add_f32_e32 v59, v51, v81
	v_sub_f32_e32 v100, v62, v60
	v_sub_f32_e32 v60, v51, v4
	;; [unrolled: 1-line block ×3, first 2 shown]
	v_add_f32_e32 v7, v7, v62
	v_fmac_f32_e32 v14, 0x3e9e377a, v13
	v_add_f32_e32 v62, v58, v61
	v_fmac_f32_e32 v10, 0x3e9e377a, v13
	v_add_f32_e32 v13, v4, v59
	v_add_f32_e32 v60, v60, v63
	v_fmac_f32_e32 v57, 0x3f167918, v9
	v_fmac_f32_e32 v55, 0xbf167918, v9
	v_fma_f32 v9, -0.5, v62, v6
	v_sub_f32_e32 v62, v4, v56
	v_add_f32_e32 v4, v56, v13
	v_add_f32_e32 v63, v64, v65
	v_fmac_f32_e32 v57, 0x3e9e377a, v60
	v_fmac_f32_e32 v55, 0x3e9e377a, v60
	v_sub_f32_e32 v56, v64, v58
	v_sub_f32_e32 v60, v65, v61
	v_fmamk_f32 v13, v62, 0x3f737871, v9
	v_sub_f32_e32 v51, v51, v54
	v_fmac_f32_e32 v9, 0xbf737871, v62
	v_add_f32_e32 v59, v54, v4
	v_fma_f32 v54, -0.5, v63, v6
	v_add_f32_e32 v4, v6, v58
	v_add_f32_e32 v60, v56, v60
	v_fmac_f32_e32 v13, 0xbf167918, v51
	v_fmac_f32_e32 v9, 0x3f167918, v51
	v_fmamk_f32 v56, v51, 0xbf737871, v54
	v_fmac_f32_e32 v54, 0x3f737871, v51
	v_add_f32_e32 v51, v64, v4
	v_mov_b32_e32 v4, v5
	v_sub_f32_e32 v6, v58, v64
	v_add_co_u32 v64, vcc_lo, s2, v1
	v_sub_f32_e32 v58, v61, v65
	v_lshlrev_b64 v[3:4], 3, v[3:4]
	v_add_f32_e32 v51, v51, v65
	v_add_co_ci_u32_e32 v65, vcc_lo, s3, v2, vcc_lo
	v_add_f32_e32 v6, v6, v58
	v_fmac_f32_e32 v54, 0x3f167918, v62
	v_add_co_u32 v1, vcc_lo, v64, v3
	v_add_co_ci_u32_e32 v2, vcc_lo, v65, v4, vcc_lo
	v_add_f32_e32 v58, v51, v61
	v_add_co_u32 v3, vcc_lo, 0x800, v1
	v_fmac_f32_e32 v54, 0x3e9e377a, v6
	v_add_co_ci_u32_e32 v4, vcc_lo, 0, v2, vcc_lo
	global_store_dwordx2 v[1:2], v[58:59], off
	v_add_co_u32 v58, vcc_lo, 0x1800, v1
	global_store_dwordx2 v[3:4], v[54:55], off offset:1552
	v_mul_u32_u24_e32 v4, 0x708, v0
	v_add_co_ci_u32_e32 v59, vcc_lo, 0, v2, vcc_lo
	v_fmac_f32_e32 v56, 0xbf167918, v62
	v_fmac_f32_e32 v13, 0x3e9e377a, v60
	;; [unrolled: 1-line block ×3, first 2 shown]
	v_add_co_u32 v60, vcc_lo, 0x2800, v1
	v_add_co_ci_u32_e32 v61, vcc_lo, 0, v2, vcc_lo
	v_add_co_u32 v62, vcc_lo, 0x3800, v1
	v_lshlrev_b64 v[3:4], 3, v[4:5]
	v_fma_f32 v44, -0.5, v80, v82
	v_fmac_f32_e32 v56, 0x3e9e377a, v6
	v_add_co_ci_u32_e32 v63, vcc_lo, 0, v2, vcc_lo
	v_add_co_u32 v6, vcc_lo, 0x1000, v1
	global_store_dwordx2 v[58:59], v[9:10], off offset:1056
	global_store_dwordx2 v[60:61], v[13:14], off offset:560
	;; [unrolled: 1-line block ×4, first 2 shown]
	v_add_co_ci_u32_e32 v7, vcc_lo, 0, v2, vcc_lo
	v_add_co_u32 v0, vcc_lo, v1, v3
	v_add_f32_e32 v68, v68, v78
	v_add_f32_e32 v78, v49, v100
	v_fmamk_f32 v50, v66, 0x3f737871, v44
	v_fmac_f32_e32 v44, 0xbf737871, v66
	v_fmamk_f32 v49, v99, 0xbf737871, v43
	v_fmac_f32_e32 v43, 0x3f737871, v99
	;; [unrolled: 2-line block ×3, first 2 shown]
	v_add_co_ci_u32_e32 v1, vcc_lo, v2, v4, vcc_lo
	v_mul_hi_u32 v4, 0x91a2b3c5, v53
	v_fmac_f32_e32 v44, 0xbf167918, v67
	v_fmac_f32_e32 v43, 0x3f167918, v98
	;; [unrolled: 1-line block ×4, first 2 shown]
	v_add_f32_e32 v77, v89, v92
	v_fmac_f32_e32 v41, 0x3f167918, v99
	v_fmac_f32_e32 v47, 0xbf167918, v99
	;; [unrolled: 1-line block ×4, first 2 shown]
	v_lshrrev_b32_e32 v4, 8, v4
	v_fmac_f32_e32 v44, 0x3e9e377a, v68
	v_fmac_f32_e32 v43, 0x3e9e377a, v78
	;; [unrolled: 1-line block ×4, first 2 shown]
	v_add_co_u32 v2, vcc_lo, 0x1000, v0
	v_fmac_f32_e32 v50, 0x3e9e377a, v68
	v_fmac_f32_e32 v49, 0x3e9e377a, v78
	v_add_co_ci_u32_e32 v3, vcc_lo, 0, v1, vcc_lo
	v_mad_u32_u24 v4, 0x708, v4, v53
	global_store_dwordx2 v[6:7], v[43:44], off offset:224
	global_store_dwordx2 v[58:59], v[41:42], off offset:1776
	;; [unrolled: 1-line block ×5, first 2 shown]
	v_add_co_u32 v6, vcc_lo, 0x2000, v0
	v_add_co_ci_u32_e32 v7, vcc_lo, 0, v1, vcc_lo
	v_add_co_u32 v8, vcc_lo, 0x2800, v0
	v_lshlrev_b64 v[13:14], 3, v[4:5]
	v_add_co_ci_u32_e32 v9, vcc_lo, 0, v1, vcc_lo
	v_add_co_u32 v0, vcc_lo, 0x3800, v0
	v_mul_hi_u32 v4, 0x91a2b3c5, v52
	v_add_co_ci_u32_e32 v1, vcc_lo, 0, v1, vcc_lo
	global_store_dwordx2 v[2:3], v[35:36], off offset:944
	global_store_dwordx2 v[6:7], v[33:34], off offset:448
	;; [unrolled: 1-line block ×4, first 2 shown]
	v_add_co_u32 v0, vcc_lo, v64, v13
	v_fmamk_f32 v20, v85, 0x3f737871, v32
	v_fmac_f32_e32 v32, 0xbf737871, v85
	v_fmamk_f32 v19, v106, 0xbf737871, v31
	v_fmac_f32_e32 v31, 0x3f737871, v106
	;; [unrolled: 2-line block ×3, first 2 shown]
	v_add_co_ci_u32_e32 v1, vcc_lo, v65, v14, vcc_lo
	v_add_co_u32 v2, vcc_lo, 0x800, v0
	v_lshrrev_b32_e32 v4, 8, v4
	v_fmac_f32_e32 v32, 0xbf167918, v87
	v_fmac_f32_e32 v31, 0x3f167918, v104
	;; [unrolled: 1-line block ×3, first 2 shown]
	v_add_co_ci_u32_e32 v3, vcc_lo, 0, v1, vcc_lo
	v_fmac_f32_e32 v17, 0xbf167918, v106
	v_add_co_u32 v6, vcc_lo, 0x1800, v0
	v_add_co_ci_u32_e32 v7, vcc_lo, 0, v1, vcc_lo
	v_mad_u32_u24 v4, 0x708, v4, v52
	v_fmac_f32_e32 v32, 0x3e9e377a, v86
	v_fmac_f32_e32 v31, 0x3e9e377a, v91
	v_add_co_u32 v8, vcc_lo, 0x2800, v0
	v_fmac_f32_e32 v29, 0x3e9e377a, v90
	v_fmac_f32_e32 v17, 0x3e9e377a, v90
	v_add_co_ci_u32_e32 v9, vcc_lo, 0, v1, vcc_lo
	global_store_dwordx2 v[0:1], v[15:16], off
	global_store_dwordx2 v[2:3], v[31:32], off offset:1552
	global_store_dwordx2 v[6:7], v[29:30], off offset:1056
	;; [unrolled: 1-line block ×3, first 2 shown]
	v_lshlrev_b64 v[2:3], 3, v[4:5]
	v_fmac_f32_e32 v20, 0x3f167918, v87
	v_fmac_f32_e32 v19, 0xbf167918, v104
	v_add_co_u32 v0, vcc_lo, 0x3800, v0
	v_add_co_ci_u32_e32 v1, vcc_lo, 0, v1, vcc_lo
	v_fmac_f32_e32 v20, 0x3e9e377a, v86
	v_fmac_f32_e32 v19, 0x3e9e377a, v91
	v_add_co_u32 v2, vcc_lo, v64, v2
	v_add_co_ci_u32_e32 v3, vcc_lo, v65, v3, vcc_lo
	global_store_dwordx2 v[0:1], v[19:20], off offset:64
	v_add_co_u32 v0, vcc_lo, 0x800, v2
	v_add_co_ci_u32_e32 v1, vcc_lo, 0, v3, vcc_lo
	v_fmac_f32_e32 v27, 0x3f167918, v105
	v_add_co_u32 v4, vcc_lo, 0x1800, v2
	v_add_co_ci_u32_e32 v5, vcc_lo, 0, v3, vcc_lo
	v_fmac_f32_e32 v21, 0xbf167918, v105
	v_add_co_u32 v6, vcc_lo, 0x2800, v2
	v_fmac_f32_e32 v27, 0x3e9e377a, v83
	v_add_co_ci_u32_e32 v7, vcc_lo, 0, v3, vcc_lo
	v_fmac_f32_e32 v25, 0x3e9e377a, v79
	v_add_co_u32 v8, vcc_lo, 0x3800, v2
	v_fmac_f32_e32 v23, 0x3e9e377a, v79
	v_fmac_f32_e32 v21, 0x3e9e377a, v83
	v_add_co_ci_u32_e32 v9, vcc_lo, 0, v3, vcc_lo
	global_store_dwordx2 v[2:3], v[11:12], off
	global_store_dwordx2 v[0:1], v[27:28], off offset:1552
	global_store_dwordx2 v[4:5], v[25:26], off offset:1056
	;; [unrolled: 1-line block ×4, first 2 shown]
.LBB0_35:
	s_endpgm
	.section	.rodata,"a",@progbits
	.p2align	6, 0x0
	.amdhsa_kernel fft_rtc_fwd_len2250_factors_10_3_5_3_5_wgs_90_tpt_90_halfLds_sp_ip_CI_unitstride_sbrr_dirReg
		.amdhsa_group_segment_fixed_size 0
		.amdhsa_private_segment_fixed_size 0
		.amdhsa_kernarg_size 88
		.amdhsa_user_sgpr_count 6
		.amdhsa_user_sgpr_private_segment_buffer 1
		.amdhsa_user_sgpr_dispatch_ptr 0
		.amdhsa_user_sgpr_queue_ptr 0
		.amdhsa_user_sgpr_kernarg_segment_ptr 1
		.amdhsa_user_sgpr_dispatch_id 0
		.amdhsa_user_sgpr_flat_scratch_init 0
		.amdhsa_user_sgpr_private_segment_size 0
		.amdhsa_wavefront_size32 1
		.amdhsa_uses_dynamic_stack 0
		.amdhsa_system_sgpr_private_segment_wavefront_offset 0
		.amdhsa_system_sgpr_workgroup_id_x 1
		.amdhsa_system_sgpr_workgroup_id_y 0
		.amdhsa_system_sgpr_workgroup_id_z 0
		.amdhsa_system_sgpr_workgroup_info 0
		.amdhsa_system_vgpr_workitem_id 0
		.amdhsa_next_free_vgpr 143
		.amdhsa_next_free_sgpr 21
		.amdhsa_reserve_vcc 1
		.amdhsa_reserve_flat_scratch 0
		.amdhsa_float_round_mode_32 0
		.amdhsa_float_round_mode_16_64 0
		.amdhsa_float_denorm_mode_32 3
		.amdhsa_float_denorm_mode_16_64 3
		.amdhsa_dx10_clamp 1
		.amdhsa_ieee_mode 1
		.amdhsa_fp16_overflow 0
		.amdhsa_workgroup_processor_mode 1
		.amdhsa_memory_ordered 1
		.amdhsa_forward_progress 0
		.amdhsa_shared_vgpr_count 0
		.amdhsa_exception_fp_ieee_invalid_op 0
		.amdhsa_exception_fp_denorm_src 0
		.amdhsa_exception_fp_ieee_div_zero 0
		.amdhsa_exception_fp_ieee_overflow 0
		.amdhsa_exception_fp_ieee_underflow 0
		.amdhsa_exception_fp_ieee_inexact 0
		.amdhsa_exception_int_div_zero 0
	.end_amdhsa_kernel
	.text
.Lfunc_end0:
	.size	fft_rtc_fwd_len2250_factors_10_3_5_3_5_wgs_90_tpt_90_halfLds_sp_ip_CI_unitstride_sbrr_dirReg, .Lfunc_end0-fft_rtc_fwd_len2250_factors_10_3_5_3_5_wgs_90_tpt_90_halfLds_sp_ip_CI_unitstride_sbrr_dirReg
                                        ; -- End function
	.section	.AMDGPU.csdata,"",@progbits
; Kernel info:
; codeLenInByte = 16348
; NumSgprs: 23
; NumVgprs: 143
; ScratchSize: 0
; MemoryBound: 0
; FloatMode: 240
; IeeeMode: 1
; LDSByteSize: 0 bytes/workgroup (compile time only)
; SGPRBlocks: 2
; VGPRBlocks: 17
; NumSGPRsForWavesPerEU: 23
; NumVGPRsForWavesPerEU: 143
; Occupancy: 7
; WaveLimiterHint : 1
; COMPUTE_PGM_RSRC2:SCRATCH_EN: 0
; COMPUTE_PGM_RSRC2:USER_SGPR: 6
; COMPUTE_PGM_RSRC2:TRAP_HANDLER: 0
; COMPUTE_PGM_RSRC2:TGID_X_EN: 1
; COMPUTE_PGM_RSRC2:TGID_Y_EN: 0
; COMPUTE_PGM_RSRC2:TGID_Z_EN: 0
; COMPUTE_PGM_RSRC2:TIDIG_COMP_CNT: 0
	.text
	.p2alignl 6, 3214868480
	.fill 48, 4, 3214868480
	.type	__hip_cuid_4e0adeb300ed811f,@object ; @__hip_cuid_4e0adeb300ed811f
	.section	.bss,"aw",@nobits
	.globl	__hip_cuid_4e0adeb300ed811f
__hip_cuid_4e0adeb300ed811f:
	.byte	0                               ; 0x0
	.size	__hip_cuid_4e0adeb300ed811f, 1

	.ident	"AMD clang version 19.0.0git (https://github.com/RadeonOpenCompute/llvm-project roc-6.4.0 25133 c7fe45cf4b819c5991fe208aaa96edf142730f1d)"
	.section	".note.GNU-stack","",@progbits
	.addrsig
	.addrsig_sym __hip_cuid_4e0adeb300ed811f
	.amdgpu_metadata
---
amdhsa.kernels:
  - .args:
      - .actual_access:  read_only
        .address_space:  global
        .offset:         0
        .size:           8
        .value_kind:     global_buffer
      - .offset:         8
        .size:           8
        .value_kind:     by_value
      - .actual_access:  read_only
        .address_space:  global
        .offset:         16
        .size:           8
        .value_kind:     global_buffer
      - .actual_access:  read_only
        .address_space:  global
        .offset:         24
        .size:           8
        .value_kind:     global_buffer
      - .offset:         32
        .size:           8
        .value_kind:     by_value
      - .actual_access:  read_only
        .address_space:  global
        .offset:         40
        .size:           8
        .value_kind:     global_buffer
      - .actual_access:  read_only
        .address_space:  global
        .offset:         48
        .size:           8
        .value_kind:     global_buffer
      - .offset:         56
        .size:           4
        .value_kind:     by_value
      - .actual_access:  read_only
        .address_space:  global
        .offset:         64
        .size:           8
        .value_kind:     global_buffer
      - .actual_access:  read_only
        .address_space:  global
        .offset:         72
        .size:           8
        .value_kind:     global_buffer
      - .address_space:  global
        .offset:         80
        .size:           8
        .value_kind:     global_buffer
    .group_segment_fixed_size: 0
    .kernarg_segment_align: 8
    .kernarg_segment_size: 88
    .language:       OpenCL C
    .language_version:
      - 2
      - 0
    .max_flat_workgroup_size: 90
    .name:           fft_rtc_fwd_len2250_factors_10_3_5_3_5_wgs_90_tpt_90_halfLds_sp_ip_CI_unitstride_sbrr_dirReg
    .private_segment_fixed_size: 0
    .sgpr_count:     23
    .sgpr_spill_count: 0
    .symbol:         fft_rtc_fwd_len2250_factors_10_3_5_3_5_wgs_90_tpt_90_halfLds_sp_ip_CI_unitstride_sbrr_dirReg.kd
    .uniform_work_group_size: 1
    .uses_dynamic_stack: false
    .vgpr_count:     143
    .vgpr_spill_count: 0
    .wavefront_size: 32
    .workgroup_processor_mode: 1
amdhsa.target:   amdgcn-amd-amdhsa--gfx1030
amdhsa.version:
  - 1
  - 2
...

	.end_amdgpu_metadata
